;; amdgpu-corpus repo=ROCm/aiter kind=harvested arch=n/a opt=n/a

/root/src/amdgpu-assembly/repos/ROCm__aiter/hsa/gfx950/pa/pa_bf16_pertokenFp8_gqa16_1tg_4w_qlen32_msk1_ps.co:	file format elf64-amdgpu

Disassembly of section .text:

0000000000002800 <_ZN5aiter42PA_A16W8_BLK1024_1TG_4W_32mx1_64nx4_MTP_PSE>:
	s_and_b32 s1, s1, 0xffff                                   // 000000002800: 8601FF01 0000FFFF
	s_load_dwordx2 s[4:5], s[0:1], 0x0                         // 000000002808: C0060100 00000000
	s_load_dwordx2 s[8:9], s[0:1], 0x10                        // 000000002810: C0060200 00000010
	s_load_dwordx2 s[12:13], s[0:1], 0x20                      // 000000002818: C0060300 00000020
	s_load_dwordx2 s[16:17], s[0:1], 0x30                      // 000000002820: C0060400 00000030
	s_load_dwordx2 s[42:43], s[0:1], 0x40                      // 000000002828: C0060A80 00000040
	s_load_dwordx2 s[40:41], s[0:1], 0x50                      // 000000002830: C0060A00 00000050
	s_load_dwordx2 s[20:21], s[0:1], 0x60                      // 000000002838: C0060500 00000060
	s_load_dwordx2 s[24:25], s[0:1], 0x70                      // 000000002840: C0060600 00000070
	s_load_dword s46, s[0:1], 0x80                             // 000000002848: C0020B80 00000080
	s_load_dword s48, s[0:1], 0x90                             // 000000002850: C0020C00 00000090
	s_load_dword s49, s[0:1], 0xa0                             // 000000002858: C0020C40 000000A0
	s_load_dword s50, s[0:1], 0xb0                             // 000000002860: C0020C80 000000B0
	s_load_dword s51, s[0:1], 0xc0                             // 000000002868: C0020CC0 000000C0
	s_load_dword s52, s[0:1], 0xd0                             // 000000002870: C0020D00 000000D0
	s_load_dword s53, s[0:1], 0xe0                             // 000000002878: C0020D40 000000E0
	s_load_dwordx2 s[44:45], s[0:1], 0x100                     // 000000002880: C0060B00 00000100
	s_load_dwordx2 s[36:37], s[0:1], 0x110                     // 000000002888: C0060900 00000110
	s_load_dwordx2 s[38:39], s[0:1], 0x120                     // 000000002890: C0060980 00000120
	s_load_dwordx2 s[28:29], s[0:1], 0x130                     // 000000002898: C0060700 00000130
	s_load_dwordx2 s[32:33], s[0:1], 0x140                     // 0000000028A0: C0060800 00000140
	s_load_dword s100, s[0:1], 0x150                           // 0000000028A8: C0021900 00000150
	s_load_dword s66, s[0:1], 0x160                            // 0000000028B0: C0021080 00000160
	v_lshrrev_b32_e32 v1, 10, v0                               // 0000000028B8: 2002008A
	v_lshrrev_b32_e32 v2, 10, v1                               // 0000000028BC: 2004028A
	v_and_b32_e32 v2, 0x3ff, v2                                // 0000000028C0: 260404FF 000003FF
	v_and_b32_e32 v1, 0x3ff, v1                                // 0000000028C8: 260202FF 000003FF
	v_and_b32_e32 v0, 0x3ff, v0                                // 0000000028D0: 260000FF 000003FF
	v_lshrrev_b32_e32 v3, 6, v0                                // 0000000028D8: 20060086
	v_and_b32_e32 v0, 63, v0                                   // 0000000028DC: 260000BF
	s_mov_b32 s58, s2                                          // 0000000028E0: BEBA0002
	v_readfirstlane_b32 s57, v3                                // 0000000028E4: 7E720503
	s_mov_b32 s56, 0x7060302                                   // 0000000028E8: BEB800FF 07060302
	v_mov_b32_e32 v191, 0xffff0000                             // 0000000028F0: 7F7E02FF FFFF0000
	v_mov_b32_e32 v192, 0x7fff0000                             // 0000000028F8: 7F8002FF 7FFF0000
	v_mov_b32_e32 v193, 0x7fff                                 // 000000002900: 7F8202FF 00007FFF
	v_mov_b32_e32 v197, 0xff800000                             // 000000002908: 7F8A02FF FF800000
	s_waitcnt lgkmcnt(0)                                       // 000000002910: BF8CC07F
	s_lshl_b32 s54, s58, 2                                     // 000000002914: 8E36823A
	s_and_b32 s37, s37, 0xffff                                 // 000000002918: 8625FF25 0000FFFF
	s_load_dwordx2 s[80:81], s[36:37], s54                     // 000000002920: C0041412 00000036
	s_mul_i32 s54, s53, 0x100                                  // 000000002928: 9236FF35 00000100
	s_mul_i32 s67, s48, s54                                    // 000000002930: 92433630
	s_mov_b32 s47, s46                                         // 000000002934: BEAF002E
	s_mov_b32 s10, 0x80000000                                  // 000000002938: BE8A00FF 80000000
	s_mov_b32 s11, 0x20000                                     // 000000002940: BE8B00FF 00020000
	s_and_b32 s9, s9, 0xffff                                   // 000000002948: 8609FF09 0000FFFF
	s_or_b32 s9, s9, 0                                         // 000000002950: 87098009
	s_mov_b32 s84, s8                                          // 000000002954: BED40008
	s_mov_b32 s85, s9                                          // 000000002958: BED50009
	s_mov_b32 s6, 0x80000000                                   // 00000000295C: BE8600FF 80000000
	s_mov_b32 s7, 0x20000                                      // 000000002964: BE8700FF 00020000
	s_and_b32 s5, s5, 0xffff                                   // 00000000296C: 8605FF05 0000FFFF
	s_or_b32 s5, s5, 0                                         // 000000002974: 87058005
	s_mov_b32 s82, s4                                          // 000000002978: BED20004
	s_mov_b32 s83, s5                                          // 00000000297C: BED30005
	s_mov_b32 s30, 0x80000000                                  // 000000002980: BE9E00FF 80000000
	s_mov_b32 s31, 0x20000                                     // 000000002988: BE9F00FF 00020000
	s_and_b32 s29, s29, 0xffff                                 // 000000002990: 861DFF1D 0000FFFF
	s_or_b32 s29, s29, 0                                       // 000000002998: 871D801D
	s_mov_b32 s94, s28                                         // 00000000299C: BEDE001C
	s_mov_b32 s95, s29                                         // 0000000029A0: BEDF001D
	s_mov_b32 s34, 0x80000000                                  // 0000000029A4: BEA200FF 80000000
	s_mov_b32 s35, 0x20000                                     // 0000000029AC: BEA300FF 00020000
	s_and_b32 s33, s33, 0xffff                                 // 0000000029B4: 8621FF21 0000FFFF
	s_or_b32 s33, s33, 0                                       // 0000000029BC: 87218021
	s_mov_b32 s96, s32                                         // 0000000029C0: BEE00020
	s_mov_b32 s97, s33                                         // 0000000029C4: BEE10021
	s_mov_b32 s14, 0x80000000                                  // 0000000029C8: BE8E00FF 80000000
	s_mov_b32 s15, 0x20000                                     // 0000000029D0: BE8F00FF 00020000
	s_and_b32 s13, s13, 0xffff                                 // 0000000029D8: 860DFF0D 0000FFFF
	s_or_b32 s13, s13, 0                                       // 0000000029E0: 870D800D
	s_mul_i32 s55, s57, 0x100                                  // 0000000029E4: 9237FF39 00000100
	s_add_u32 s86, s12, s55                                    // 0000000029EC: 8056370C
	s_addc_u32 s87, s13, 0                                     // 0000000029F0: 8257800D
	s_mov_b32 s18, 0x80000000                                  // 0000000029F4: BE9200FF 80000000
	s_mov_b32 s19, 0x20000                                     // 0000000029FC: BE9300FF 00020000
	s_and_b32 s17, s17, 0xffff                                 // 000000002A04: 8611FF11 0000FFFF
	s_or_b32 s17, s17, 0                                       // 000000002A0C: 87118011
	s_add_u32 s88, s16, s55                                    // 000000002A10: 80583710
	s_addc_u32 s89, s17, 0                                     // 000000002A14: 82598011
	s_mov_b32 s22, 0x80000000                                  // 000000002A18: BE9600FF 80000000
	s_mov_b32 s23, 0x20000                                     // 000000002A20: BE9700FF 00020000
	s_and_b32 s21, s21, 0xffff                                 // 000000002A28: 8615FF15 0000FFFF
	s_or_b32 s21, s21, 0                                       // 000000002A30: 87158015
	s_mul_i32 s55, s57, 64                                     // 000000002A34: 9237C039
	s_add_u32 s90, s20, s55                                    // 000000002A38: 805A3714
	s_addc_u32 s91, s21, 0                                     // 000000002A3C: 825B8015
	s_mov_b32 s26, 0x80000000                                  // 000000002A40: BE9A00FF 80000000
	s_mov_b32 s27, 0x20000                                     // 000000002A48: BE9B00FF 00020000
	s_and_b32 s25, s25, 0xffff                                 // 000000002A50: 8619FF19 0000FFFF
	s_or_b32 s25, s25, 0                                       // 000000002A58: 87198019
	s_add_u32 s92, s24, s55                                    // 000000002A5C: 805C3718
	s_addc_u32 s93, s25, 0                                     // 000000002A60: 825D8019
	s_and_b32 s39, s39, 0xffff                                 // 000000002A64: 8627FF27 0000FFFF
	s_and_b32 s41, s41, 0xffff                                 // 000000002A6C: 8629FF29 0000FFFF
	s_and_b32 s43, s43, 0xffff                                 // 000000002A74: 862BFF2B 0000FFFF
	s_and_b32 s45, s45, 0xffff                                 // 000000002A7C: 862DFF2D 0000FFFF
	v_and_b32_e32 v162, 15, v0                                 // 000000002A84: 2744008F
	v_lshlrev_b32_e32 v162, 4, v162                            // 000000002A88: 25454484
	s_lshl_b32 s54, s57, 2                                     // 000000002A8C: 8E368239
	v_lshrrev_b32_e32 v154, 4, v0                              // 000000002A90: 21340084
	v_add_u32_e32 v154, s54, v154                              // 000000002A94: 69353436
	v_add_u32_e32 v155, 16, v154                               // 000000002A98: 69373490
	v_cvt_f32_u32_e32 v186, s53                                // 000000002A9C: 7F740C35
	v_sub_i32 v158, 0, s53                                     // 000000002AA0: D29D009E 00006A80
	v_rcp_iflag_f32_e32 v186, v186                             // 000000002AA8: 7F7447BA
	s_nop 0                                                    // 000000002AAC: BF800000
	v_mul_f32_e32 v186, 0x4f7ffffe, v186                       // 000000002AB0: 0B7574FF 4F7FFFFE
	v_cvt_u32_f32_e32 v186, v186                               // 000000002AB8: 7F740FBA
	v_mul_lo_u32 v187, v158, v186                              // 000000002ABC: D28500BB 0003759E
	v_mul_hi_u32 v187, v186, v187                              // 000000002AC4: D28600BB 000377BA
	v_add_u32_e32 v186, v186, v187                             // 000000002ACC: 697577BA
	v_mul_hi_u32 v186, v154, v186                              // 000000002AD0: D28600BA 0003759A
	v_mul_lo_u32 v187, v186, s53                               // 000000002AD8: D28500BB 00006BBA
	v_sub_u32_e32 v189, v154, v187                             // 000000002AE0: 6B7B779A
	v_add_u32_e32 v188, 1, v186                                // 000000002AE4: 69797481
	v_cmp_le_u32_e32 vcc, s53, v189                            // 000000002AE8: 7D977A35
	v_subrev_u32_e32 v187, s53, v189                           // 000000002AEC: 6D777A35
	s_nop 0                                                    // 000000002AF0: BF800000
	v_cndmask_b32_e32 v186, v186, v188, vcc                    // 000000002AF4: 017579BA
	v_cndmask_b32_e32 v189, v189, v187, vcc                    // 000000002AF8: 017B77BD
	v_add_u32_e32 v187, 1, v186                                // 000000002AFC: 69777481
	v_cmp_le_u32_e32 vcc, s53, v189                            // 000000002B00: 7D977A35
	s_nop 1                                                    // 000000002B04: BF800001
	v_cndmask_b32_e32 v158, v186, v187, vcc                    // 000000002B08: 013D77BA
	v_mul_i32_i24_e32 v188, s53, v158                          // 000000002B0C: 0D793C35
	v_sub_u32_e32 v188, v154, v188                             // 000000002B10: 6B79799A
	v_mul_u32_u24_e32 v188, 0x100, v188                        // 000000002B14: 117978FF 00000100
	v_mul_u32_u24_e32 v198, s49, v158                          // 000000002B1C: 118D3C31
	v_add3_u32 v198, v188, v198, v162                          // 000000002B20: D1FF00C6 068B8DBC
	v_mul_u32_u24_e32 v200, s67, v158                          // 000000002B28: 11913C43
	v_add3_u32 v200, v188, v200, v162                          // 000000002B2C: D1FF00C8 068B91BC
	v_cvt_f32_u32_e32 v186, s53                                // 000000002B34: 7F740C35
	v_sub_i32 v158, 0, s53                                     // 000000002B38: D29D009E 00006A80
	v_rcp_iflag_f32_e32 v186, v186                             // 000000002B40: 7F7447BA
	s_nop 0                                                    // 000000002B44: BF800000
	v_mul_f32_e32 v186, 0x4f7ffffe, v186                       // 000000002B48: 0B7574FF 4F7FFFFE
	v_cvt_u32_f32_e32 v186, v186                               // 000000002B50: 7F740FBA
	v_mul_lo_u32 v187, v158, v186                              // 000000002B54: D28500BB 0003759E
	v_mul_hi_u32 v187, v186, v187                              // 000000002B5C: D28600BB 000377BA
	v_add_u32_e32 v186, v186, v187                             // 000000002B64: 697577BA
	v_mul_hi_u32 v186, v155, v186                              // 000000002B68: D28600BA 0003759B
	v_mul_lo_u32 v187, v186, s53                               // 000000002B70: D28500BB 00006BBA
	v_sub_u32_e32 v189, v155, v187                             // 000000002B78: 6B7B779B
	v_add_u32_e32 v188, 1, v186                                // 000000002B7C: 69797481
	v_cmp_le_u32_e32 vcc, s53, v189                            // 000000002B80: 7D977A35
	v_subrev_u32_e32 v187, s53, v189                           // 000000002B84: 6D777A35
	s_nop 0                                                    // 000000002B88: BF800000
	v_cndmask_b32_e32 v186, v186, v188, vcc                    // 000000002B8C: 017579BA
	v_cndmask_b32_e32 v189, v189, v187, vcc                    // 000000002B90: 017B77BD
	v_add_u32_e32 v187, 1, v186                                // 000000002B94: 69777481
	v_cmp_le_u32_e32 vcc, s53, v189                            // 000000002B98: 7D977A35
	s_nop 1                                                    // 000000002B9C: BF800001
	v_cndmask_b32_e32 v158, v186, v187, vcc                    // 000000002BA0: 013D77BA
	v_mul_i32_i24_e32 v188, s53, v158                          // 000000002BA4: 0D793C35
	v_sub_u32_e32 v188, v155, v188                             // 000000002BA8: 6B79799B
	v_mul_u32_u24_e32 v188, 0x100, v188                        // 000000002BAC: 117978FF 00000100
	v_mul_u32_u24_e32 v199, s49, v158                          // 000000002BB4: 118F3C31
	v_add3_u32 v199, v188, v199, v162                          // 000000002BB8: D1FF00C7 068B8FBC
	v_mul_u32_u24_e32 v201, s67, v158                          // 000000002BC0: 11933C43
	v_add3_u32 v201, v188, v201, v162                          // 000000002BC4: D1FF00C9 068B93BC
	s_lshl_b32 s54, s57, 6                                     // 000000002BCC: 8E368639
	v_lshrrev_b32_e32 v162, 4, v0                              // 000000002BD0: 21440084
	v_lshlrev_b32_e32 v162, 4, v162                            // 000000002BD4: 25454484
	v_add_u32_e32 v162, s54, v162                              // 000000002BD8: 69454436
	v_and_b32_e32 v154, 15, v0                                 // 000000002BDC: 2734008F
	v_add_u32_e64 v155, v154, 16                               // 000000002BE0: D134009B 0001219A
	s_mul_i32 s54, s48, s53                                    // 000000002BE8: 92363530
	s_lshl_b32 s54, s54, 2                                     // 000000002BEC: 8E368236
	s_mul_i32 s55, s54, 0x80                                   // 000000002BF0: 9237FF36 00000080
	v_cvt_f32_u32_e32 v186, s53                                // 000000002BF8: 7F740C35
	v_sub_i32 v158, 0, s53                                     // 000000002BFC: D29D009E 00006A80
	v_rcp_iflag_f32_e32 v186, v186                             // 000000002C04: 7F7447BA
	s_nop 0                                                    // 000000002C08: BF800000
	v_mul_f32_e32 v186, 0x4f7ffffe, v186                       // 000000002C0C: 0B7574FF 4F7FFFFE
	v_cvt_u32_f32_e32 v186, v186                               // 000000002C14: 7F740FBA
	v_mul_lo_u32 v187, v158, v186                              // 000000002C18: D28500BB 0003759E
	v_mul_hi_u32 v187, v186, v187                              // 000000002C20: D28600BB 000377BA
	v_add_u32_e32 v186, v186, v187                             // 000000002C28: 697577BA
	v_mul_hi_u32 v186, v154, v186                              // 000000002C2C: D28600BA 0003759A
	v_mul_lo_u32 v187, v186, s53                               // 000000002C34: D28500BB 00006BBA
	v_sub_u32_e32 v189, v154, v187                             // 000000002C3C: 6B7B779A
	v_add_u32_e32 v188, 1, v186                                // 000000002C40: 69797481
	v_cmp_le_u32_e32 vcc, s53, v189                            // 000000002C44: 7D977A35
	v_subrev_u32_e32 v187, s53, v189                           // 000000002C48: 6D777A35
	s_nop 0                                                    // 000000002C4C: BF800000
	v_cndmask_b32_e32 v186, v186, v188, vcc                    // 000000002C50: 017579BA
	v_cndmask_b32_e32 v189, v189, v187, vcc                    // 000000002C54: 017B77BD
	v_add_u32_e32 v187, 1, v186                                // 000000002C58: 69777481
	v_cmp_le_u32_e32 vcc, s53, v189                            // 000000002C5C: 7D977A35
	s_nop 1                                                    // 000000002C60: BF800001
	v_cndmask_b32_e32 v158, v186, v187, vcc                    // 000000002C64: 013D77BA
	v_mul_i32_i24_e32 v188, s53, v158                          // 000000002C68: 0D793C35
	v_sub_u32_e32 v188, v154, v188                             // 000000002C6C: 6B79799A
	v_lshlrev_b32_e32 v189, 2, v188                            // 000000002C70: 257B7882
	v_mul_u32_u24_e32 v210, s54, v158                          // 000000002C74: 11A53C36
	v_add_u32_e32 v210, v189, v210                             // 000000002C78: 69A5A5BD
	v_mul_u32_u24_e32 v189, 0x200, v188                        // 000000002C7C: 117B78FF 00000200
	v_mul_u32_u24_e32 v212, s55, v158                          // 000000002C84: 11A93C37
	v_add3_u32 v212, v189, v212, v162                          // 000000002C88: D1FF00D4 068BA9BD
	v_cvt_f32_u32_e32 v186, s53                                // 000000002C90: 7F740C35
	v_sub_i32 v158, 0, s53                                     // 000000002C94: D29D009E 00006A80
	v_rcp_iflag_f32_e32 v186, v186                             // 000000002C9C: 7F7447BA
	s_nop 0                                                    // 000000002CA0: BF800000
	v_mul_f32_e32 v186, 0x4f7ffffe, v186                       // 000000002CA4: 0B7574FF 4F7FFFFE
	v_cvt_u32_f32_e32 v186, v186                               // 000000002CAC: 7F740FBA
	v_mul_lo_u32 v187, v158, v186                              // 000000002CB0: D28500BB 0003759E
	v_mul_hi_u32 v187, v186, v187                              // 000000002CB8: D28600BB 000377BA
	v_add_u32_e32 v186, v186, v187                             // 000000002CC0: 697577BA
	v_mul_hi_u32 v186, v155, v186                              // 000000002CC4: D28600BA 0003759B
	v_mul_lo_u32 v187, v186, s53                               // 000000002CCC: D28500BB 00006BBA
	v_sub_u32_e32 v189, v155, v187                             // 000000002CD4: 6B7B779B
	v_add_u32_e32 v188, 1, v186                                // 000000002CD8: 69797481
	v_cmp_le_u32_e32 vcc, s53, v189                            // 000000002CDC: 7D977A35
	v_subrev_u32_e32 v187, s53, v189                           // 000000002CE0: 6D777A35
	s_nop 0                                                    // 000000002CE4: BF800000
	v_cndmask_b32_e32 v186, v186, v188, vcc                    // 000000002CE8: 017579BA
	v_cndmask_b32_e32 v189, v189, v187, vcc                    // 000000002CEC: 017B77BD
	v_add_u32_e32 v187, 1, v186                                // 000000002CF0: 69777481
	v_cmp_le_u32_e32 vcc, s53, v189                            // 000000002CF4: 7D977A35
	s_nop 1                                                    // 000000002CF8: BF800001
	v_cndmask_b32_e32 v158, v186, v187, vcc                    // 000000002CFC: 013D77BA
	v_mul_i32_i24_e32 v188, s53, v158                          // 000000002D00: 0D793C35
	v_sub_u32_e32 v188, v155, v188                             // 000000002D04: 6B79799B
	v_lshlrev_b32_e32 v189, 2, v188                            // 000000002D08: 257B7882
	v_mul_u32_u24_e32 v211, s54, v158                          // 000000002D0C: 11A73C36
	v_add_u32_e32 v211, v189, v211                             // 000000002D10: 69A7A7BD
	v_mul_u32_u24_e32 v189, 0x200, v188                        // 000000002D14: 117B78FF 00000200
	v_mul_u32_u24_e32 v213, s55, v158                          // 000000002D1C: 11AB3C37
	v_add3_u32 v213, v189, v213, v162                          // 000000002D20: D1FF00D5 068BABBD
	s_lshl_b32 s54, s57, 5                                     // 000000002D28: 8E368539
	v_and_b32_e32 v186, 15, v0                                 // 000000002D2C: 2774008F
	v_mul_i32_i24_e32 v186, 0x90, v186                         // 000000002D30: 0D7574FF 00000090
	v_lshrrev_b32_e32 v187, 4, v0                              // 000000002D38: 21760084
	v_lshlrev_b32_e32 v187, 3, v187                            // 000000002D3C: 25777683
	v_add3_u32 v214, v186, v187, s54                           // 000000002D40: D1FF00D6 00DB77BA
	v_and_b32_e32 v215, 15, v0                                 // 000000002D48: 27AE008F
	v_lshlrev_b32_e32 v215, 3, v215                            // 000000002D4C: 25AFAE83
	s_mul_i32 s54, s57, 0x240                                  // 000000002D50: 9236FF39 00000240
	v_lshrrev_b32_e32 v186, 4, v0                              // 000000002D58: 21740084
	v_lshlrev_b32_e32 v186, 7, v186                            // 000000002D5C: 25757487
	v_lshrrev_b32_e32 v187, 5, v0                              // 000000002D60: 21760085
	v_lshlrev_b32_e32 v187, 5, v187                            // 000000002D64: 25777685
	v_and_b32_e32 v188, 15, v0                                 // 000000002D68: 2778008F
	v_lshlrev_b32_e32 v188, 3, v188                            // 000000002D6C: 25797883
	v_add3_u32 v186, v186, v187, v188                          // 000000002D70: D1FF00BA 06F377BA
	v_add_u32_e32 v216, s54, v186                              // 000000002D78: 69B17436
	v_and_b32_e32 v186, 15, v0                                 // 000000002D7C: 2774008F
	v_lshlrev_b32_e32 v187, 7, v186                            // 000000002D80: 25777487
	v_lshrrev_b32_e32 v186, 1, v186                            // 000000002D84: 21757481
	v_lshlrev_b32_e32 v186, 5, v186                            // 000000002D88: 25757485
	v_lshrrev_b32_e32 v188, 4, v0                              // 000000002D8C: 21780084
	v_lshlrev_b32_e32 v188, 4, v188                            // 000000002D90: 25797884
	v_add3_u32 v217, v186, v187, v188                          // 000000002D94: D1FF00D9 06F377BA
	s_mul_i32 s54, s57, 0x240                                  // 000000002D9C: 9236FF39 00000240
	v_lshrrev_b32_e32 v186, 5, v0                              // 000000002DA4: 21740085
	v_mul_i32_i24_e32 v186, 0x120, v186                        // 000000002DA8: 0D7574FF 00000120
	v_lshrrev_b32_e32 v187, 4, v0                              // 000000002DB0: 21760084
	v_and_b32_e32 v187, 1, v187                                // 000000002DB4: 27777681
	v_lshlrev_b32_e32 v187, 3, v187                            // 000000002DB8: 25777683
	v_and_b32_e32 v188, 15, v0                                 // 000000002DBC: 2778008F
	v_lshlrev_b32_e32 v188, 4, v188                            // 000000002DC0: 25797884
	v_add3_u32 v218, v186, v187, v188                          // 000000002DC4: D1FF00DA 06F377BA
	v_add_u32_e32 v218, s54, v218                              // 000000002DCC: 69B5B436
	s_lshl_b32 s54, s57, 6                                     // 000000002DD0: 8E368639
	v_lshrrev_b32_e32 v186, 4, v0                              // 000000002DD4: 21740084
	v_lshlrev_b32_e32 v186, 4, v186                            // 000000002DD8: 25757484
	v_and_b32_e32 v187, 15, v0                                 // 000000002DDC: 2776008F
	v_mul_i32_i24_e32 v187, 0x120, v187                        // 000000002DE0: 0D7776FF 00000120
	v_add3_u32 v219, v186, v187, s54                           // 000000002DE8: D1FF00DB 00DB77BA
	v_lshrrev_b32_e32 v186, 4, v0                              // 000000002DF0: 21740084
	v_and_b32_e32 v187, 15, v0                                 // 000000002DF4: 2776008F
	v_lshlrev_b32_e32 v188, 4, v187                            // 000000002DF8: 25797684
	v_mul_i32_i24_e32 v202, 0x4000, v186                       // 000000002DFC: 0D9574FF 00004000
	v_add_u32_e32 v202, v188, v202                             // 000000002E04: 699595BC
	v_add_u32_e32 v203, 0x10000, v202                          // 000000002E08: 699794FF 00010000
	v_mul_i32_i24_e32 v204, 0x800, v186                        // 000000002E10: 0D9974FF 00000800
	v_add_u32_e32 v204, v188, v204                             // 000000002E18: 699999BC
	v_add_u32_e32 v205, 0x2000, v204                           // 000000002E1C: 699B98FF 00002000
	v_add_u32_e32 v206, 0x2000, v205                           // 000000002E24: 699D9AFF 00002000
	v_add_u32_e32 v207, 0x2000, v206                           // 000000002E2C: 699F9CFF 00002000
	v_lshlrev_b32_e32 v186, 2, v186                            // 000000002E34: 25757482
	v_lshrrev_b32_e32 v187, 2, v187                            // 000000002E38: 21777682
	v_lshlrev_b32_e32 v187, 6, v187                            // 000000002E3C: 25777686
	v_and_b32_e32 v188, 3, v0                                  // 000000002E40: 27780083
	v_add3_u32 v186, v186, v187, v188                          // 000000002E44: D1FF00BA 06F377BA
	v_lshlrev_b32_e32 v208, 2, v186                            // 000000002E4C: 25A17482
	v_mov_b32_e32 v209, v208                                   // 000000002E50: 7FA203D0
	s_lshl_b32 s54, s57, 4                                     // 000000002E54: 8E368439
	v_lshrrev_b32_e32 v196, 4, v0                              // 000000002E58: 21880084
	v_lshlrev_b32_e32 v196, 2, v196                            // 000000002E5C: 25898882
	v_add_u32_e32 v196, s54, v196                              // 000000002E60: 69898836
	s_lshl_b32 s54, s57, 6                                     // 000000002E64: 8E368639
	v_add_u32_e32 v220, s54, v0                                // 000000002E68: 69B80036
	v_lshlrev_b32_e32 v220, 3, v220                            // 000000002E6C: 25B9B883
	v_and_b32_e32 v221, 15, v0                                 // 000000002E70: 27BA008F
	v_lshlrev_b32_e32 v221, 3, v221                            // 000000002E74: 25BBBA83
	s_lshl_b32 s54, s57, 8                                     // 000000002E78: 8E368839
	v_and_b32_e32 v187, 15, v0                                 // 000000002E7C: 2776008F
	v_lshlrev_b32_e32 v187, 4, v187                            // 000000002E80: 25777684
	v_lshrrev_b32_e32 v188, 4, v0                              // 000000002E84: 21780084
	v_lshlrev_b32_e32 v188, 2, v188                            // 000000002E88: 25797882
	v_add3_u32 v222, v187, v188, s54                           // 000000002E8C: D1FF00DE 00DB79BB
	v_and_b32_e32 v186, 15, v0                                 // 000000002E94: 2774008F
	v_lshlrev_b32_e32 v186, 4, v186                            // 000000002E98: 25757484
	v_lshrrev_b32_e32 v187, 4, v0                              // 000000002E9C: 21760084
	v_lshlrev_b32_e32 v187, 8, v187                            // 000000002EA0: 25777688
	v_add_u32_e32 v223, v186, v187                             // 000000002EA4: 69BF77BA
	s_waitcnt lgkmcnt(0)                                       // 000000002EA8: BF8CC07F

0000000000002eac <label_01AB>:
	s_cmp_lt_i32 s80, s81                                      // 000000002EAC: BF045150
	s_cbranch_scc0 label_36CF                                  // 000000002EB0: BF843522
	s_lshl_b32 s54, s80, 5                                     // 000000002EB4: 8E368550
	s_load_dwordx8 s[72:79], s[38:39], s54                     // 000000002EB8: C00C1213 00000036
	v_mov_b32_e32 v138, 0xff7fffff                             // 000000002EC0: 7F1402FF FF7FFFFF
	v_mov_b64_e32 v[142:143], 0                                // 000000002EC8: 7F1C7080
	v_mov_b64_e32 v[146:147], 0                                // 000000002ECC: 7F247080
	v_mov_b64_e32 v[132:133], 0                                // 000000002ED0: 7F087080
	v_mov_b32_e32 v139, 0xff7fffff                             // 000000002ED4: 7F1602FF FF7FFFFF
	v_mov_b64_e32 v[144:145], 0                                // 000000002EDC: 7F207080
	v_mov_b64_e32 v[148:149], 0                                // 000000002EE0: 7F287080
	v_mov_b64_e32 v[134:135], 0                                // 000000002EE4: 7F0C7080
	v_mov_b32_e32 v108, 0                                      // 000000002EE8: 7ED80280
	v_mov_b32_e32 v92, 0                                       // 000000002EEC: 7EB80280
	v_mov_b32_e32 v109, 0                                      // 000000002EF0: 7EDA0280
	v_mov_b32_e32 v93, 0                                       // 000000002EF4: 7EBA0280
	v_mov_b32_e32 v110, 0                                      // 000000002EF8: 7EDC0280
	v_mov_b32_e32 v94, 0                                       // 000000002EFC: 7EBC0280
	v_mov_b32_e32 v111, 0                                      // 000000002F00: 7EDE0280
	v_mov_b32_e32 v95, 0                                       // 000000002F04: 7EBE0280
	v_mov_b32_e32 v112, 0                                      // 000000002F08: 7EE00280
	v_mov_b32_e32 v96, 0                                       // 000000002F0C: 7EC00280
	v_mov_b32_e32 v113, 0                                      // 000000002F10: 7EE20280
	v_mov_b32_e32 v97, 0                                       // 000000002F14: 7EC20280
	v_mov_b32_e32 v114, 0                                      // 000000002F18: 7EE40280
	v_mov_b32_e32 v98, 0                                       // 000000002F1C: 7EC40280
	v_mov_b32_e32 v115, 0                                      // 000000002F20: 7EE60280
	v_mov_b32_e32 v99, 0                                       // 000000002F24: 7EC60280
	v_mov_b32_e32 v116, 0                                      // 000000002F28: 7EE80280
	v_mov_b32_e32 v100, 0                                      // 000000002F2C: 7EC80280
	v_mov_b32_e32 v117, 0                                      // 000000002F30: 7EEA0280
	v_mov_b32_e32 v101, 0                                      // 000000002F34: 7ECA0280
	v_mov_b32_e32 v118, 0                                      // 000000002F38: 7EEC0280
	v_mov_b32_e32 v102, 0                                      // 000000002F3C: 7ECC0280
	v_mov_b32_e32 v119, 0                                      // 000000002F40: 7EEE0280
	v_mov_b32_e32 v103, 0                                      // 000000002F44: 7ECE0280
	v_mov_b32_e32 v120, 0                                      // 000000002F48: 7EF00280
	v_mov_b32_e32 v104, 0                                      // 000000002F4C: 7ED00280
	v_mov_b32_e32 v121, 0                                      // 000000002F50: 7EF20280
	v_mov_b32_e32 v105, 0                                      // 000000002F54: 7ED20280
	v_mov_b32_e32 v122, 0                                      // 000000002F58: 7EF40280
	v_mov_b32_e32 v106, 0                                      // 000000002F5C: 7ED40280
	v_mov_b32_e32 v123, 0                                      // 000000002F60: 7EF60280
	v_mov_b32_e32 v107, 0                                      // 000000002F64: 7ED60280
	s_waitcnt lgkmcnt(0)                                       // 000000002F68: BF8CC07F
	s_mul_i32 s64, s76, 0x400                                  // 000000002F6C: 9240FF4C 00000400
	s_lshl_b32 s54, s72, 2                                     // 000000002F74: 8E368248
	s_load_dword s60, s[44:45], s54                            // 000000002F78: C0000F16 00000036
	s_load_dword s61, s[40:41], s54                            // 000000002F80: C0000F54 00000036
	s_lshl_b32 s68, s76, 2                                     // 000000002F88: 8E44824C
	s_cmp_lt_u32 s76, s77                                      // 000000002F8C: BF0A4D4C
	s_cselect_b32 s68, s68, 0                                  // 000000002F90: 85448044
	s_addk_i32 s76, 0x1                                        // 000000002F94: B74C0001
	s_load_dword s59, s[42:43], s68                            // 000000002F98: C0000ED5 00000044
	s_and_b32 s79, s79, 0xffff                                 // 000000002FA0: 864FFF4F 0000FFFF
	v_cvt_f32_u32_e32 v186, s53                                // 000000002FA8: 7F740C35
	s_sub_i32 s78, 0, s53                                      // 000000002FAC: 81CE3580
	v_rcp_iflag_f32_e32 v186, v186                             // 000000002FB0: 7F7447BA
	s_nop 0                                                    // 000000002FB4: BF800000
	v_mul_f32_e32 v186, 0x4f7ffffe, v186                       // 000000002FB8: 0B7574FF 4F7FFFFE
	v_cvt_u32_f32_e32 v186, v186                               // 000000002FC0: 7F740FBA
	v_mul_lo_u32 v187, s78, v186                               // 000000002FC4: D28500BB 0003744E
	v_mul_hi_u32 v187, v186, v187                              // 000000002FCC: D28600BB 000377BA
	v_add_u32_e32 v186, v186, v187                             // 000000002FD4: 697577BA
	v_mul_hi_u32 v186, s79, v186                               // 000000002FD8: D28600BA 0003744F
	v_mul_lo_u32 v187, v186, s53                               // 000000002FE0: D28500BB 00006BBA
	v_sub_u32_e32 v189, s79, v187                              // 000000002FE8: 6B7B764F
	v_add_u32_e32 v188, 1, v186                                // 000000002FEC: 69797481
	v_cmp_le_u32_e32 vcc, s53, v189                            // 000000002FF0: 7D977A35
	v_subrev_u32_e32 v187, s53, v189                           // 000000002FF4: 6D777A35
	s_nop 0                                                    // 000000002FF8: BF800000
	v_cndmask_b32_e32 v186, v186, v188, vcc                    // 000000002FFC: 017579BA
	v_cndmask_b32_e32 v189, v189, v187, vcc                    // 000000003000: 017B77BD
	v_add_u32_e32 v187, 1, v186                                // 000000003004: 69777481
	v_cmp_le_u32_e32 vcc, s53, v189                            // 000000003008: 7D977A35
	s_nop 1                                                    // 00000000300C: BF800001
	v_cndmask_b32_e32 v189, v186, v187, vcc                    // 000000003010: 017B77BA
	s_nop 3                                                    // 000000003014: BF800003
	v_readfirstlane_b32 s78, v189                              // 000000003018: 7E9C05BD
	s_nop 3                                                    // 00000000301C: BF800003
	s_mul_i32 s65, s53, 0x100                                  // 000000003020: 9241FF35 00000100
	s_add_u32 s54, s52, 1                                      // 000000003028: 80368134
	s_mul_i32 s54, s49, s54                                    // 00000000302C: 92363631
	s_mul_i32 s54, s72, s54                                    // 000000003030: 92363648
	s_mul_i32 s55, s78, s65                                    // 000000003034: 9237414E
	s_add_u32 s54, s54, s55                                    // 000000003038: 80363736
	s_add_u32 s8, s84, s54                                     // 00000000303C: 80083654
	s_addc_u32 s9, s85, 0                                      // 000000003040: 82098055
	s_mul_i32 s54, s52, s49                                    // 000000003044: 92363134
	s_add_u32 s10, s54, s65                                    // 000000003048: 800A4136
	s_add_u32 s54, s52, 1                                      // 00000000304C: 80368134
	s_mul_i32 s54, s54, s67                                    // 000000003050: 92364336
	s_mul_i32 s54, s54, s72                                    // 000000003054: 92364836
	s_mul_i32 s55, s78, s65                                    // 000000003058: 9237414E
	s_add_u32 s54, s54, s55                                    // 00000000305C: 80363736
	s_add_u32 s4, s82, s54                                     // 000000003060: 80043652
	s_addc_u32 s5, s83, 0                                      // 000000003064: 82058053
	s_mul_i32 s54, s52, s67                                    // 000000003068: 92364334
	s_add_u32 s6, s54, s65                                     // 00000000306C: 80064136
	s_mul_i32 s55, s53, 0x200                                  // 000000003070: 9237FF35 00000200
	s_mul_i32 s54, s73, s48                                    // 000000003078: 92363049
	s_add_u32 s54, s54, s78                                    // 00000000307C: 80364E36
	s_mul_i32 s54, s54, s55                                    // 000000003080: 92363736
	s_add_u32 s28, s94, s54                                    // 000000003084: 801C365E
	s_addc_u32 s29, s95, 0                                     // 000000003088: 821D805F
	s_add_u32 s54, s52, 1                                      // 00000000308C: 80368134
	s_mul_i32 s54, s54, s48                                    // 000000003090: 92363036
	s_mul_i32 s30, s54, s55                                    // 000000003094: 921E3736
	s_mul_i32 s55, s53, 4                                      // 000000003098: 92378435
	s_mul_i32 s54, s73, s48                                    // 00000000309C: 92363049
	s_add_u32 s54, s54, s78                                    // 0000000030A0: 80364E36
	s_mul_i32 s54, s54, s55                                    // 0000000030A4: 92363736
	s_add_u32 s32, s96, s54                                    // 0000000030A8: 80203660
	s_addc_u32 s33, s97, 0                                     // 0000000030AC: 82218061
	s_add_u32 s54, s52, 1                                      // 0000000030B0: 80368134
	s_mul_i32 s54, s54, s48                                    // 0000000030B4: 92363036
	s_mul_i32 s34, s54, s55                                    // 0000000030B8: 92223736
	buffer_load_dwordx4 v[4:7], v198, s[8:11], 0 offen         // 0000000030BC: E05C1000 800204C6
	buffer_load_dwordx4 v[8:11], v199, s[8:11], 0 offen        // 0000000030C4: E05C1000 800208C7
	s_waitcnt lgkmcnt(0)                                       // 0000000030CC: BF8CC07F
	s_mul_i32 s54, s60, 0x400                                  // 0000000030D0: 9236FF3C 00000400
	s_sub_i32 s64, s64, s54                                    // 0000000030D8: 81C03640
	s_mul_i32 s69, s59, s50                                    // 0000000030DC: 9245323B
	s_mul_i32 s71, s59, s66                                    // 0000000030E0: 9247423B
	s_mul_i32 s54, s78, s51                                    // 0000000030E4: 9236334E
	s_add_u32 s69, s69, s54                                    // 0000000030E8: 80453645
	s_mov_b32 s70, s69                                         // 0000000030EC: BEC60045
	s_mul_i32 s54, s78, s100                                   // 0000000030F0: 9236644E
	s_add_u32 s71, s71, s54                                    // 0000000030F4: 80473647
	s_add_u32 s12, s86, s69                                    // 0000000030F8: 800C4556
	s_addc_u32 s13, s87, 0                                     // 0000000030FC: 820D8057
	s_add_u32 s16, s88, s70                                    // 000000003100: 80104658
	s_addc_u32 s17, s89, 0                                     // 000000003104: 82118059
	s_add_u32 s20, s90, s71                                    // 000000003108: 8014475A
	s_addc_u32 s21, s91, 0                                     // 00000000310C: 8215805B
	s_add_u32 s24, s92, s71                                    // 000000003110: 8018475C
	s_addc_u32 s25, s93, 0                                     // 000000003114: 8219805D
	s_add_u32 s69, s69, 0x1000                                 // 000000003118: 8045FF45 00001000
	s_add_u32 s70, s70, 0x8000                                 // 000000003120: 8046FF46 00008000
	s_add_u32 s71, s71, 0x400                                  // 000000003128: 8047FF47 00000400
	buffer_load_dwordx4 a[0:3], v202, s[12:15], 0 offen        // 000000003130: E05C1000 808300CA
	buffer_load_dwordx4 a[4:7], v203, s[12:15], 0 offen        // 000000003138: E05C1000 808304CB
	buffer_load_dwordx4 a[8:11], v202, s[12:15], 0 offen offset:1024// 000000003140: E05C1400 808308CA
	buffer_load_dwordx4 a[12:15], v203, s[12:15], 0 offen offset:1024// 000000003148: E05C1400 80830CCB
	buffer_load_dwordx4 a[16:19], v202, s[12:15], 0 offen offset:2048// 000000003150: E05C1800 808310CA
	buffer_load_dwordx4 a[20:23], v203, s[12:15], 0 offen offset:2048// 000000003158: E05C1800 808314CB
	buffer_load_dwordx4 a[24:27], v202, s[12:15], 0 offen offset:3072// 000000003160: E05C1C00 808318CA
	buffer_load_dwordx4 a[28:31], v203, s[12:15], 0 offen offset:3072// 000000003168: E05C1C00 80831CCB
	buffer_load_dword v128, v208, s[20:23], 0 offen            // 000000003170: E0501000 800580D0
	buffer_load_dword v130, v209, s[24:27], 0 offen            // 000000003178: E0501000 800682D1
	buffer_load_dwordx4 a[64:67], v204, s[16:19], 0 offen      // 000000003180: E05C1000 808440CC
	buffer_load_dwordx4 a[68:71], v205, s[16:19], 0 offen      // 000000003188: E05C1000 808444CD
	buffer_load_dwordx4 a[72:75], v206, s[16:19], 0 offen      // 000000003190: E05C1000 808448CE
	buffer_load_dwordx4 a[76:79], v207, s[16:19], 0 offen      // 000000003198: E05C1000 80844CCF
	buffer_load_dwordx4 a[80:83], v204, s[16:19], 0 offen offset:1024// 0000000031A0: E05C1400 808450CC
	buffer_load_dwordx4 a[84:87], v205, s[16:19], 0 offen offset:1024// 0000000031A8: E05C1400 808454CD
	buffer_load_dwordx4 a[88:91], v206, s[16:19], 0 offen offset:1024// 0000000031B0: E05C1400 808458CE
	buffer_load_dwordx4 a[92:95], v207, s[16:19], 0 offen offset:1024// 0000000031B8: E05C1400 80845CCF
	s_sub_i32 s54, s77, s60                                    // 0000000031C0: 81B63C4D
	s_mul_i32 s62, s54, 0x400                                  // 0000000031C4: 923EFF36 00000400
	s_cmp_lt_i32 s62, s61                                      // 0000000031CC: BF043D3E
	s_cselect_b32 s62, s62, s61                                // 0000000031D0: 853E3D3E
	s_sub_i32 s54, s61, s52                                    // 0000000031D4: 81B6343D
	v_and_b32_e32 v154, 15, v0                                 // 0000000031D8: 2734008F
	v_add_u32_e32 v155, 16, v154                               // 0000000031DC: 69373490
	s_cmp_lt_i32 s62, s54                                      // 0000000031E0: BF04363E
	s_cselect_b32 s63, s62, s54                                // 0000000031E4: 853F363E
	s_and_b32 s63, s63, 0xffffff00                             // 0000000031E8: 863FFF3F FFFFFF00
	v_cvt_f32_u32_e32 v186, s53                                // 0000000031F0: 7F740C35
	v_sub_i32 v156, 0, s53                                     // 0000000031F4: D29D009C 00006A80
	v_rcp_iflag_f32_e32 v186, v186                             // 0000000031FC: 7F7447BA
	s_nop 0                                                    // 000000003200: BF800000
	v_mul_f32_e32 v186, 0x4f7ffffe, v186                       // 000000003204: 0B7574FF 4F7FFFFE
	v_cvt_u32_f32_e32 v186, v186                               // 00000000320C: 7F740FBA
	v_mul_lo_u32 v187, v156, v186                              // 000000003210: D28500BB 0003759C
	v_mul_hi_u32 v187, v186, v187                              // 000000003218: D28600BB 000377BA
	v_add_u32_e32 v186, v186, v187                             // 000000003220: 697577BA
	v_mul_hi_u32 v186, v154, v186                              // 000000003224: D28600BA 0003759A
	v_mul_lo_u32 v187, v186, s53                               // 00000000322C: D28500BB 00006BBA
	v_sub_u32_e32 v189, v154, v187                             // 000000003234: 6B7B779A
	v_add_u32_e32 v188, 1, v186                                // 000000003238: 69797481
	v_cmp_le_u32_e32 vcc, s53, v189                            // 00000000323C: 7D977A35
	v_subrev_u32_e32 v187, s53, v189                           // 000000003240: 6D777A35
	s_nop 0                                                    // 000000003244: BF800000
	v_cndmask_b32_e32 v186, v186, v188, vcc                    // 000000003248: 017579BA
	v_cndmask_b32_e32 v189, v189, v187, vcc                    // 00000000324C: 017B77BD
	v_add_u32_e32 v187, 1, v186                                // 000000003250: 69777481
	v_cmp_le_u32_e32 vcc, s53, v189                            // 000000003254: 7D977A35
	s_nop 1                                                    // 000000003258: BF800001
	v_cndmask_b32_e32 v156, v186, v187, vcc                    // 00000000325C: 013977BA
	v_add_u32_e32 v194, s54, v156                              // 000000003260: 69853836
	v_cmp_lt_u32_e32 vcc, s62, v194                            // 000000003264: 7D93843E
	v_mov_b32_e32 v186, s62                                    // 000000003268: 7F74023E
	v_cndmask_b32_e32 v194, v194, v186, vcc                    // 00000000326C: 018575C2
	v_cvt_f32_u32_e32 v186, s53                                // 000000003270: 7F740C35
	v_sub_i32 v156, 0, s53                                     // 000000003274: D29D009C 00006A80
	v_rcp_iflag_f32_e32 v186, v186                             // 00000000327C: 7F7447BA
	s_nop 0                                                    // 000000003280: BF800000
	v_mul_f32_e32 v186, 0x4f7ffffe, v186                       // 000000003284: 0B7574FF 4F7FFFFE
	v_cvt_u32_f32_e32 v186, v186                               // 00000000328C: 7F740FBA
	v_mul_lo_u32 v187, v156, v186                              // 000000003290: D28500BB 0003759C
	v_mul_hi_u32 v187, v186, v187                              // 000000003298: D28600BB 000377BA
	v_add_u32_e32 v186, v186, v187                             // 0000000032A0: 697577BA
	v_mul_hi_u32 v186, v155, v186                              // 0000000032A4: D28600BA 0003759B
	v_mul_lo_u32 v187, v186, s53                               // 0000000032AC: D28500BB 00006BBA
	v_sub_u32_e32 v189, v155, v187                             // 0000000032B4: 6B7B779B
	v_add_u32_e32 v188, 1, v186                                // 0000000032B8: 69797481
	v_cmp_le_u32_e32 vcc, s53, v189                            // 0000000032BC: 7D977A35
	v_subrev_u32_e32 v187, s53, v189                           // 0000000032C0: 6D777A35
	s_nop 0                                                    // 0000000032C4: BF800000
	v_cndmask_b32_e32 v186, v186, v188, vcc                    // 0000000032C8: 017579BA
	v_cndmask_b32_e32 v189, v189, v187, vcc                    // 0000000032CC: 017B77BD
	v_add_u32_e32 v187, 1, v186                                // 0000000032D0: 69777481
	v_cmp_le_u32_e32 vcc, s53, v189                            // 0000000032D4: 7D977A35
	s_nop 1                                                    // 0000000032D8: BF800001
	v_cndmask_b32_e32 v156, v186, v187, vcc                    // 0000000032DC: 013977BA
	v_add_u32_e32 v195, s54, v156                              // 0000000032E0: 69873836
	v_cmp_lt_u32_e32 vcc, s62, v195                            // 0000000032E4: 7D93863E
	v_mov_b32_e32 v186, s62                                    // 0000000032E8: 7F74023E
	v_cndmask_b32_e32 v195, v195, v186, vcc                    // 0000000032EC: 018775C3
	s_waitcnt vmcnt(18)                                        // 0000000032F0: BF8C4F72
	v_lshlrev_b32_e32 v12, 16, v4                              // 0000000032F4: 24180890
	v_and_b32_e32 v13, 0xffff0000, v4                          // 0000000032F8: 261A08FF FFFF0000
	v_lshlrev_b32_e32 v14, 16, v5                              // 000000003300: 241C0A90
	v_and_b32_e32 v15, 0xffff0000, v5                          // 000000003304: 261E0AFF FFFF0000
	v_lshlrev_b32_e32 v16, 16, v6                              // 00000000330C: 24200C90
	v_and_b32_e32 v17, 0xffff0000, v6                          // 000000003310: 26220CFF FFFF0000
	v_lshlrev_b32_e32 v18, 16, v7                              // 000000003318: 24240E90
	v_and_b32_e32 v19, 0xffff0000, v7                          // 00000000331C: 26260EFF FFFF0000
	v_lshlrev_b32_e32 v20, 16, v8                              // 000000003324: 24281090
	v_and_b32_e32 v21, 0xffff0000, v8                          // 000000003328: 262A10FF FFFF0000
	v_lshlrev_b32_e32 v22, 16, v9                              // 000000003330: 242C1290
	v_and_b32_e32 v23, 0xffff0000, v9                          // 000000003334: 262E12FF FFFF0000
	v_lshlrev_b32_e32 v24, 16, v10                             // 00000000333C: 24301490
	v_and_b32_e32 v25, 0xffff0000, v10                         // 000000003340: 263214FF FFFF0000
	v_lshlrev_b32_e32 v26, 16, v11                             // 000000003348: 24341690
	v_and_b32_e32 v27, 0xffff0000, v11                         // 00000000334C: 263616FF FFFF0000
	v_mov_b32_e32 v150, 0x358637bd                             // 000000003354: 7F2C02FF 358637BD
	v_max3_f32 v150, |v12|, |v13|, v150                        // 00000000335C: D1D30396 065A1B0C
	v_max3_f32 v150, |v14|, |v15|, v150                        // 000000003364: D1D30396 065A1F0E
	v_max3_f32 v150, |v16|, |v17|, v150                        // 00000000336C: D1D30396 065A2310
	v_max3_f32 v150, |v18|, |v19|, v150                        // 000000003374: D1D30396 065A2712
	v_mov_b32_e32 v151, 0x358637bd                             // 00000000337C: 7F2E02FF 358637BD
	v_max3_f32 v151, |v20|, |v21|, v151                        // 000000003384: D1D30397 065E2B14
	v_max3_f32 v151, |v22|, |v23|, v151                        // 00000000338C: D1D30397 065E2F16
	v_max3_f32 v151, |v24|, |v25|, v151                        // 000000003394: D1D30397 065E3318
	v_max3_f32 v151, |v26|, |v27|, v151                        // 00000000339C: D1D30397 065E371A
	ds_write_b64 v214, v[150:151] offset:2304                  // 0000000033A4: D89A0900 000096D6
	s_waitcnt lgkmcnt(0)                                       // 0000000033AC: BF8CC07F
	s_barrier                                                  // 0000000033B0: BF8A0000
	ds_read_b64 v[154:155], v215 offset:2304                   // 0000000033B4: D8EC0900 9A0000D7
	ds_read_b64 v[156:157], v215 offset:2448                   // 0000000033BC: D8EC0990 9C0000D7
	ds_read_b64 v[158:159], v215 offset:2592                   // 0000000033C4: D8EC0A20 9E0000D7
	ds_read_b64 v[160:161], v215 offset:2736                   // 0000000033CC: D8EC0AB0 A00000D7
	ds_read_b64 v[162:163], v215 offset:2880                   // 0000000033D4: D8EC0B40 A20000D7
	ds_read_b64 v[164:165], v215 offset:3024                   // 0000000033DC: D8EC0BD0 A40000D7
	ds_read_b64 v[166:167], v215 offset:3168                   // 0000000033E4: D8EC0C60 A60000D7
	ds_read_b64 v[168:169], v215 offset:3312                   // 0000000033EC: D8EC0CF0 A80000D7
	ds_read_b64 v[170:171], v215 offset:3456                   // 0000000033F4: D8EC0D80 AA0000D7
	ds_read_b64 v[172:173], v215 offset:3600                   // 0000000033FC: D8EC0E10 AC0000D7
	ds_read_b64 v[174:175], v215 offset:3744                   // 000000003404: D8EC0EA0 AE0000D7
	ds_read_b64 v[176:177], v215 offset:3888                   // 00000000340C: D8EC0F30 B00000D7
	ds_read_b64 v[178:179], v215 offset:4032                   // 000000003414: D8EC0FC0 B20000D7
	ds_read_b64 v[180:181], v215 offset:4176                   // 00000000341C: D8EC1050 B40000D7
	ds_read_b64 v[182:183], v215 offset:4320                   // 000000003424: D8EC10E0 B60000D7
	ds_read_b64 v[184:185], v215 offset:4464                   // 00000000342C: D8EC1170 B80000D7
	s_waitcnt lgkmcnt(0)                                       // 000000003434: BF8CC07F
	v_mov_b32_e32 v150, 0x358637bd                             // 000000003438: 7F2C02FF 358637BD
	v_mov_b32_e32 v151, 0x358637bd                             // 000000003440: 7F2E02FF 358637BD
	v_max3_f32 v150, v154, v156, v150                          // 000000003448: D1D30096 065B399A
	v_max3_f32 v151, v155, v157, v151                          // 000000003450: D1D30097 065F3B9B
	v_max3_f32 v150, v158, v160, v150                          // 000000003458: D1D30096 065B419E
	v_max3_f32 v151, v159, v161, v151                          // 000000003460: D1D30097 065F439F
	v_max3_f32 v150, v162, v164, v150                          // 000000003468: D1D30096 065B49A2
	v_max3_f32 v151, v163, v165, v151                          // 000000003470: D1D30097 065F4BA3
	v_max3_f32 v150, v166, v168, v150                          // 000000003478: D1D30096 065B51A6
	v_max3_f32 v151, v167, v169, v151                          // 000000003480: D1D30097 065F53A7
	v_max3_f32 v150, v170, v172, v150                          // 000000003488: D1D30096 065B59AA
	v_max3_f32 v151, v171, v173, v151                          // 000000003490: D1D30097 065F5BAB
	v_max3_f32 v150, v174, v176, v150                          // 000000003498: D1D30096 065B61AE
	v_max3_f32 v151, v175, v177, v151                          // 0000000034A0: D1D30097 065F63AF
	v_max3_f32 v150, v178, v180, v150                          // 0000000034A8: D1D30096 065B69B2
	v_max3_f32 v151, v179, v181, v151                          // 0000000034B0: D1D30097 065F6BB3
	v_max3_f32 v150, v182, v184, v150                          // 0000000034B8: D1D30096 065B71B6
	v_max3_f32 v151, v183, v185, v151                          // 0000000034C0: D1D30097 065F73B7
	v_rcp_f32_e32 v150, v150                                   // 0000000034C8: 7F2C4596
	v_rcp_f32_e32 v151, v151                                   // 0000000034CC: 7F2E4597
	v_mul_f32_e32 v150, 0x43700000, v150                       // 0000000034D0: 0B2D2CFF 43700000
	v_mul_f32_e32 v151, 0x43700000, v151                       // 0000000034D8: 0B2F2EFF 43700000
	s_lshl_b32 s54, s57, 2                                     // 0000000034E0: 8E368239
	v_lshrrev_b32_e32 v188, 4, v0                              // 0000000034E4: 21780084
	v_add_u32_e32 v188, s54, v188                              // 0000000034E8: 69797836
	v_lshlrev_b32_e32 v188, 2, v188                            // 0000000034EC: 25797882
	ds_bpermute_b32 v186, v188, v150                           // 0000000034F0: D87E0000 BA0096BC
	ds_bpermute_b32 v187, v188, v151                           // 0000000034F8: D87E0000 BB0097BC
	s_waitcnt lgkmcnt(0)                                       // 000000003500: BF8CC07F
	v_mul_f32_e32 v12, v12, v186                               // 000000003504: 0A19750C
	v_mul_f32_e32 v13, v13, v186                               // 000000003508: 0A1B750D
	v_mul_f32_e32 v14, v14, v186                               // 00000000350C: 0A1D750E
	v_mul_f32_e32 v15, v15, v186                               // 000000003510: 0A1F750F
	v_mul_f32_e32 v16, v16, v186                               // 000000003514: 0A217510
	v_mul_f32_e32 v17, v17, v186                               // 000000003518: 0A237511
	v_mul_f32_e32 v18, v18, v186                               // 00000000351C: 0A257512
	v_mul_f32_e32 v19, v19, v186                               // 000000003520: 0A277513
	v_mul_f32_e32 v20, v20, v187                               // 000000003524: 0A297714
	v_mul_f32_e32 v21, v21, v187                               // 000000003528: 0A2B7715
	v_mul_f32_e32 v22, v22, v187                               // 00000000352C: 0A2D7716
	v_mul_f32_e32 v23, v23, v187                               // 000000003530: 0A2F7717
	v_mul_f32_e32 v24, v24, v187                               // 000000003534: 0A317718
	v_mul_f32_e32 v25, v25, v187                               // 000000003538: 0A337719
	v_mul_f32_e32 v26, v26, v187                               // 00000000353C: 0A35771A
	v_mul_f32_e32 v27, v27, v187                               // 000000003540: 0A37771B
	v_rcp_f32_e32 v124, v150                                   // 000000003544: 7EF84596
	v_rcp_f32_e32 v126, v151                                   // 000000003548: 7EFC4597
	v_mov_b32_e32 v125, v124                                   // 00000000354C: 7EFA037C
	v_mov_b32_e32 v127, v126                                   // 000000003550: 7EFE037E
	v_cvt_pk_fp8_f32 v12, v12, v13                             // 000000003554: D2A2000C 00021B0C
	v_cvt_pk_fp8_f32 v12, v14, v15 op_sel:[0,0,1]              // 00000000355C: D2A2400C 00021F0E
	v_cvt_pk_fp8_f32 v13, v16, v17                             // 000000003564: D2A2000D 00022310
	v_cvt_pk_fp8_f32 v13, v18, v19 op_sel:[0,0,1]              // 00000000356C: D2A2400D 00022712
	v_cvt_pk_fp8_f32 v14, v20, v21                             // 000000003574: D2A2000E 00022B14
	v_cvt_pk_fp8_f32 v14, v22, v23 op_sel:[0,0,1]              // 00000000357C: D2A2400E 00022F16
	v_cvt_pk_fp8_f32 v15, v24, v25                             // 000000003584: D2A2000F 00023318
	v_cvt_pk_fp8_f32 v15, v26, v27 op_sel:[0,0,1]              // 00000000358C: D2A2400F 0002371A
	ds_write_b64 v216, v[12:13] offset:4608                    // 000000003594: D89A1200 00000CD8
	ds_write_b64 v216, v[14:15] offset:6912                    // 00000000359C: D89A1B00 00000ED8
	s_waitcnt lgkmcnt(0)                                       // 0000000035A4: BF8CC07F
	s_barrier                                                  // 0000000035A8: BF8A0000
	ds_read_b128 v[12:15], v217 offset:4608                    // 0000000035AC: D9FE1200 0C0000D9
	ds_read_b128 v[16:19], v217 offset:4672                    // 0000000035B4: D9FE1240 100000D9
	ds_read_b128 v[20:23], v217 offset:6912                    // 0000000035BC: D9FE1B00 140000D9
	ds_read_b128 v[24:27], v217 offset:6976                    // 0000000035C4: D9FE1B40 180000D9
	s_waitcnt lgkmcnt(0)                                       // 0000000035CC: BF8CC07F
	s_cmp_lt_i32 s57, 2                                        // 0000000035D0: BF048239
	s_cbranch_scc0 label_10BA                                  // 0000000035D4: BF840D44

00000000000035d8 <label_0376>:
	s_cmp_lt_i32 s64, s63                                      // 0000000035D8: BF043F40
	s_cbranch_scc0 label_1DFE                                  // 0000000035DC: BF841A86
	s_waitcnt vmcnt(10)                                        // 0000000035E0: BF8C0F7A
	v_mfma_f32_16x16x32_fp8_fp8 v[28:31], a[0:1], v[12:13], 0  // 0000000035E4: D3F3001C 0A021900
	s_add_u32 s12, s86, s69                                    // 0000000035EC: 800C4556
	s_addc_u32 s13, s87, 0                                     // 0000000035F0: 820D8057
	v_mfma_f32_16x16x32_fp8_fp8 v[28:31], a[2:3], v[14:15], v[28:31]// 0000000035F4: D3F3001C 0C721D02
	s_add_u32 s16, s88, s70                                    // 0000000035FC: 80104658
	s_addc_u32 s17, s89, 0                                     // 000000003600: 82118059
	v_mfma_f32_16x16x32_fp8_fp8 v[28:31], a[4:5], v[16:17], v[28:31]// 000000003604: D3F3001C 0C722104
	buffer_load_dwordx4 a[32:35], v202, s[12:15], 0 offen      // 00000000360C: E05C1000 808320CA
	v_mfma_f32_16x16x32_fp8_fp8 v[28:31], a[6:7], v[18:19], v[28:31]// 000000003614: D3F3001C 0C722506
	s_add_u32 s20, s90, s71                                    // 00000000361C: 8014475A
	s_addc_u32 s21, s91, 0                                     // 000000003620: 8215805B
	v_mfma_f32_16x16x32_fp8_fp8 v[32:35], a[8:9], v[12:13], 0  // 000000003624: D3F30020 0A021908
	s_add_u32 s24, s92, s71                                    // 00000000362C: 8018475C
	s_addc_u32 s25, s93, 0                                     // 000000003630: 8219805D
	v_mfma_f32_16x16x32_fp8_fp8 v[32:35], a[10:11], v[14:15], v[32:35]// 000000003634: D3F30020 0C821D0A
	s_add_u32 s69, s69, 0x1000                                 // 00000000363C: 8045FF45 00001000
	s_add_u32 s70, s70, 0x8000                                 // 000000003644: 8046FF46 00008000
	v_mfma_f32_16x16x32_fp8_fp8 v[32:35], a[12:13], v[16:17], v[32:35]// 00000000364C: D3F30020 0C82210C
	buffer_load_dwordx4 a[36:39], v203, s[12:15], 0 offen      // 000000003654: E05C1000 808324CB
	v_mfma_f32_16x16x32_fp8_fp8 v[32:35], a[14:15], v[18:19], v[32:35]// 00000000365C: D3F30020 0C82250E
	s_add_u32 s71, s71, 0x400                                  // 000000003664: 8047FF47 00000400
	v_mfma_f32_16x16x32_fp8_fp8 v[36:39], a[16:17], v[12:13], 0// 00000000366C: D3F30024 0A021910
	v_mfma_f32_16x16x32_fp8_fp8 v[36:39], a[18:19], v[14:15], v[36:39]// 000000003674: D3F30024 0C921D12
	v_mfma_f32_16x16x32_fp8_fp8 v[36:39], a[20:21], v[16:17], v[36:39]// 00000000367C: D3F30024 0C922114
	buffer_load_dwordx4 a[40:43], v202, s[12:15], 0 offen offset:1024// 000000003684: E05C1400 808328CA
	v_mfma_f32_16x16x32_fp8_fp8 v[36:39], a[22:23], v[18:19], v[36:39]// 00000000368C: D3F30024 0C922516
	v_mfma_f32_16x16x32_fp8_fp8 v[40:43], a[24:25], v[12:13], 0// 000000003694: D3F30028 0A021918
	v_mfma_f32_16x16x32_fp8_fp8 v[40:43], a[26:27], v[14:15], v[40:43]// 00000000369C: D3F30028 0CA21D1A
	v_mfma_f32_16x16x32_fp8_fp8 v[40:43], a[28:29], v[16:17], v[40:43]// 0000000036A4: D3F30028 0CA2211C
	buffer_load_dwordx4 a[44:47], v203, s[12:15], 0 offen offset:1024// 0000000036AC: E05C1400 80832CCB
	v_mfma_f32_16x16x32_fp8_fp8 v[40:43], a[30:31], v[18:19], v[40:43]// 0000000036B4: D3F30028 0CA2251E
	v_mfma_f32_16x16x32_fp8_fp8 v[44:47], a[0:1], v[20:21], 0  // 0000000036BC: D3F3002C 0A022900
	v_mfma_f32_16x16x32_fp8_fp8 v[44:47], a[2:3], v[22:23], v[44:47]// 0000000036C4: D3F3002C 0CB22D02
	v_mfma_f32_16x16x32_fp8_fp8 v[44:47], a[4:5], v[24:25], v[44:47]// 0000000036CC: D3F3002C 0CB23104
	buffer_load_dwordx4 a[48:51], v202, s[12:15], 0 offen offset:2048// 0000000036D4: E05C1800 808330CA
	v_mfma_f32_16x16x32_fp8_fp8 v[44:47], a[6:7], v[26:27], v[44:47]// 0000000036DC: D3F3002C 0CB23506
	v_mfma_f32_16x16x32_fp8_fp8 v[48:51], a[8:9], v[20:21], 0  // 0000000036E4: D3F30030 0A022908
	v_mfma_f32_16x16x32_fp8_fp8 v[48:51], a[10:11], v[22:23], v[48:51]// 0000000036EC: D3F30030 0CC22D0A
	v_mfma_f32_16x16x32_fp8_fp8 v[48:51], a[12:13], v[24:25], v[48:51]// 0000000036F4: D3F30030 0CC2310C
	buffer_load_dwordx4 a[52:55], v203, s[12:15], 0 offen offset:2048// 0000000036FC: E05C1800 808334CB
	v_mfma_f32_16x16x32_fp8_fp8 v[48:51], a[14:15], v[26:27], v[48:51]// 000000003704: D3F30030 0CC2350E
	v_mfma_f32_16x16x32_fp8_fp8 v[52:55], a[16:17], v[20:21], 0// 00000000370C: D3F30034 0A022910
	v_mfma_f32_16x16x32_fp8_fp8 v[52:55], a[18:19], v[22:23], v[52:55]// 000000003714: D3F30034 0CD22D12
	v_mfma_f32_16x16x32_fp8_fp8 v[52:55], a[20:21], v[24:25], v[52:55]// 00000000371C: D3F30034 0CD23114
	buffer_load_dwordx4 a[56:59], v202, s[12:15], 0 offen offset:3072// 000000003724: E05C1C00 808338CA
	v_mfma_f32_16x16x32_fp8_fp8 v[52:55], a[22:23], v[26:27], v[52:55]// 00000000372C: D3F30034 0CD23516
	v_mfma_f32_16x16x32_fp8_fp8 v[56:59], a[24:25], v[20:21], 0// 000000003734: D3F30038 0A022918
	v_mfma_f32_16x16x32_fp8_fp8 v[56:59], a[26:27], v[22:23], v[56:59]// 00000000373C: D3F30038 0CE22D1A
	v_mfma_f32_16x16x32_fp8_fp8 v[56:59], a[28:29], v[24:25], v[56:59]// 000000003744: D3F30038 0CE2311C
	buffer_load_dwordx4 a[60:63], v203, s[12:15], 0 offen offset:3072// 00000000374C: E05C1C00 80833CCB
	v_mfma_f32_16x16x32_fp8_fp8 v[56:59], a[30:31], v[26:27], v[56:59]// 000000003754: D3F30038 0CE2351E
	s_waitcnt vmcnt(16)                                        // 00000000375C: BF8C4F70
	v_pk_mul_f32 v[28:29], v[124:125], v[28:29]                // 000000003760: D3B1401C 1802397C
	v_pk_mul_f32 v[30:31], v[124:125], v[30:31]                // 000000003768: D3B1401E 18023D7C
	v_mul_f32_dpp v28, v128, v28 row_newbcast:0 row_mask:0xf bank_mask:0xf// 000000003770: 0A3838FA FF015080
	v_mul_f32_dpp v29, v128, v29 row_newbcast:1 row_mask:0xf bank_mask:0xf// 000000003778: 0A3A3AFA FF015180
	v_mul_f32_dpp v30, v128, v30 row_newbcast:2 row_mask:0xf bank_mask:0xf// 000000003780: 0A3C3CFA FF015280
	v_mul_f32_dpp v31, v128, v31 row_newbcast:3 row_mask:0xf bank_mask:0xf// 000000003788: 0A3E3EFA FF015380
	v_pk_mul_f32 v[32:33], v[124:125], v[32:33]                // 000000003790: D3B14020 1802417C
	v_pk_mul_f32 v[34:35], v[124:125], v[34:35]                // 000000003798: D3B14022 1802457C
	v_mul_f32_dpp v32, v128, v32 row_newbcast:4 row_mask:0xf bank_mask:0xf// 0000000037A0: 0A4040FA FF015480
	v_mul_f32_dpp v33, v128, v33 row_newbcast:5 row_mask:0xf bank_mask:0xf// 0000000037A8: 0A4242FA FF015580
	v_mul_f32_dpp v34, v128, v34 row_newbcast:6 row_mask:0xf bank_mask:0xf// 0000000037B0: 0A4444FA FF015680
	v_mul_f32_dpp v35, v128, v35 row_newbcast:7 row_mask:0xf bank_mask:0xf// 0000000037B8: 0A4646FA FF015780
	v_pk_mul_f32 v[36:37], v[124:125], v[36:37]                // 0000000037C0: D3B14024 1802497C
	v_pk_mul_f32 v[38:39], v[124:125], v[38:39]                // 0000000037C8: D3B14026 18024D7C
	v_mul_f32_dpp v36, v128, v36 row_newbcast:8 row_mask:0xf bank_mask:0xf// 0000000037D0: 0A4848FA FF015880
	v_mul_f32_dpp v37, v128, v37 row_newbcast:9 row_mask:0xf bank_mask:0xf// 0000000037D8: 0A4A4AFA FF015980
	v_mul_f32_dpp v38, v128, v38 row_newbcast:10 row_mask:0xf bank_mask:0xf// 0000000037E0: 0A4C4CFA FF015A80
	v_mul_f32_dpp v39, v128, v39 row_newbcast:11 row_mask:0xf bank_mask:0xf// 0000000037E8: 0A4E4EFA FF015B80
	v_pk_mul_f32 v[40:41], v[124:125], v[40:41]                // 0000000037F0: D3B14028 1802517C
	v_pk_mul_f32 v[42:43], v[124:125], v[42:43]                // 0000000037F8: D3B1402A 1802557C
	v_mul_f32_dpp v40, v128, v40 row_newbcast:12 row_mask:0xf bank_mask:0xf// 000000003800: 0A5050FA FF015C80
	v_mul_f32_dpp v41, v128, v41 row_newbcast:13 row_mask:0xf bank_mask:0xf// 000000003808: 0A5252FA FF015D80
	v_mul_f32_dpp v42, v128, v42 row_newbcast:14 row_mask:0xf bank_mask:0xf// 000000003810: 0A5454FA FF015E80
	v_mul_f32_dpp v43, v128, v43 row_newbcast:15 row_mask:0xf bank_mask:0xf// 000000003818: 0A5656FA FF015F80
	v_pk_mul_f32 v[44:45], v[126:127], v[44:45]                // 000000003820: D3B1402C 1802597E
	v_pk_mul_f32 v[46:47], v[126:127], v[46:47]                // 000000003828: D3B1402E 18025D7E
	v_mul_f32_dpp v44, v128, v44 row_newbcast:0 row_mask:0xf bank_mask:0xf// 000000003830: 0A5858FA FF015080
	v_mul_f32_dpp v45, v128, v45 row_newbcast:1 row_mask:0xf bank_mask:0xf// 000000003838: 0A5A5AFA FF015180
	v_mul_f32_dpp v46, v128, v46 row_newbcast:2 row_mask:0xf bank_mask:0xf// 000000003840: 0A5C5CFA FF015280
	v_mul_f32_dpp v47, v128, v47 row_newbcast:3 row_mask:0xf bank_mask:0xf// 000000003848: 0A5E5EFA FF015380
	v_pk_mul_f32 v[48:49], v[126:127], v[48:49]                // 000000003850: D3B14030 1802617E
	v_pk_mul_f32 v[50:51], v[126:127], v[50:51]                // 000000003858: D3B14032 1802657E
	v_mul_f32_dpp v48, v128, v48 row_newbcast:4 row_mask:0xf bank_mask:0xf// 000000003860: 0A6060FA FF015480
	v_mul_f32_dpp v49, v128, v49 row_newbcast:5 row_mask:0xf bank_mask:0xf// 000000003868: 0A6262FA FF015580
	v_mul_f32_dpp v50, v128, v50 row_newbcast:6 row_mask:0xf bank_mask:0xf// 000000003870: 0A6464FA FF015680
	v_mul_f32_dpp v51, v128, v51 row_newbcast:7 row_mask:0xf bank_mask:0xf// 000000003878: 0A6666FA FF015780
	v_pk_mul_f32 v[52:53], v[126:127], v[52:53]                // 000000003880: D3B14034 1802697E
	v_pk_mul_f32 v[54:55], v[126:127], v[54:55]                // 000000003888: D3B14036 18026D7E
	v_mul_f32_dpp v52, v128, v52 row_newbcast:8 row_mask:0xf bank_mask:0xf// 000000003890: 0A6868FA FF015880
	v_mul_f32_dpp v53, v128, v53 row_newbcast:9 row_mask:0xf bank_mask:0xf// 000000003898: 0A6A6AFA FF015980
	v_mul_f32_dpp v54, v128, v54 row_newbcast:10 row_mask:0xf bank_mask:0xf// 0000000038A0: 0A6C6CFA FF015A80
	v_mul_f32_dpp v55, v128, v55 row_newbcast:11 row_mask:0xf bank_mask:0xf// 0000000038A8: 0A6E6EFA FF015B80
	v_pk_mul_f32 v[56:57], v[126:127], v[56:57]                // 0000000038B0: D3B14038 1802717E
	v_pk_mul_f32 v[58:59], v[126:127], v[58:59]                // 0000000038B8: D3B1403A 1802757E
	v_mul_f32_dpp v56, v128, v56 row_newbcast:12 row_mask:0xf bank_mask:0xf// 0000000038C0: 0A7070FA FF015C80
	v_mul_f32_dpp v57, v128, v57 row_newbcast:13 row_mask:0xf bank_mask:0xf// 0000000038C8: 0A7272FA FF015D80
	v_mul_f32_dpp v58, v128, v58 row_newbcast:14 row_mask:0xf bank_mask:0xf// 0000000038D0: 0A7474FA FF015E80
	v_mul_f32_dpp v59, v128, v59 row_newbcast:15 row_mask:0xf bank_mask:0xf// 0000000038D8: 0A7676FA FF015F80
	v_mov_b32_e32 v150, v28                                    // 0000000038E0: 7F2C031C
	v_max3_f32 v150, v28, v29, v150                            // 0000000038E4: D1D30096 065A3B1C
	v_max3_f32 v150, v30, v31, v150                            // 0000000038EC: D1D30096 065A3F1E
	v_max3_f32 v150, v32, v33, v150                            // 0000000038F4: D1D30096 065A4320
	v_max3_f32 v150, v34, v35, v150                            // 0000000038FC: D1D30096 065A4722
	v_max3_f32 v150, v36, v37, v150                            // 000000003904: D1D30096 065A4B24
	v_max3_f32 v150, v38, v39, v150                            // 00000000390C: D1D30096 065A4F26
	v_max3_f32 v150, v40, v41, v150                            // 000000003914: D1D30096 065A5328
	v_max3_f32 v150, v42, v43, v150                            // 00000000391C: D1D30096 065A572A
	v_mov_b32_e32 v151, v44                                    // 000000003924: 7F2E032C
	v_max3_f32 v151, v44, v45, v151                            // 000000003928: D1D30097 065E5B2C
	v_max3_f32 v151, v46, v47, v151                            // 000000003930: D1D30097 065E5F2E
	v_max3_f32 v151, v48, v49, v151                            // 000000003938: D1D30097 065E6330
	v_max3_f32 v151, v50, v51, v151                            // 000000003940: D1D30097 065E6732
	v_max3_f32 v151, v52, v53, v151                            // 000000003948: D1D30097 065E6B34
	v_max3_f32 v151, v54, v55, v151                            // 000000003950: D1D30097 065E6F36
	v_max3_f32 v151, v56, v57, v151                            // 000000003958: D1D30097 065E7338
	v_max3_f32 v151, v58, v59, v151                            // 000000003960: D1D30097 065E773A
	ds_write_b64 v220, v[150:151]                              // 000000003968: D89A0000 000096DC
	v_pk_mul_f32 v[108:109], v[142:143], v[108:109]            // 000000003970: D3B1406C 1802D98E
	v_pk_mul_f32 v[110:111], v[142:143], v[110:111]            // 000000003978: D3B1406E 1802DD8E
	v_pk_mul_f32 v[112:113], v[142:143], v[112:113]            // 000000003980: D3B14070 1802E18E
	v_pk_mul_f32 v[114:115], v[142:143], v[114:115]            // 000000003988: D3B14072 1802E58E
	v_pk_mul_f32 v[116:117], v[144:145], v[116:117]            // 000000003990: D3B14074 1802E990
	v_pk_mul_f32 v[118:119], v[144:145], v[118:119]            // 000000003998: D3B14076 1802ED90
	v_pk_mul_f32 v[120:121], v[144:145], v[120:121]            // 0000000039A0: D3B14078 1802F190
	v_pk_mul_f32 v[122:123], v[144:145], v[122:123]            // 0000000039A8: D3B1407A 1802F590
	s_waitcnt lgkmcnt(0)                                       // 0000000039B0: BF8CC07F
	s_barrier                                                  // 0000000039B4: BF8A0000
	ds_read_b64 v[154:155], v221                               // 0000000039B8: D8EC0000 9A0000DD
	ds_read_b64 v[156:157], v221 offset:128                    // 0000000039C0: D8EC0080 9C0000DD
	ds_read_b64 v[158:159], v221 offset:256                    // 0000000039C8: D8EC0100 9E0000DD
	ds_read_b64 v[160:161], v221 offset:384                    // 0000000039D0: D8EC0180 A00000DD
	ds_read_b64 v[162:163], v221 offset:512                    // 0000000039D8: D8EC0200 A20000DD
	ds_read_b64 v[164:165], v221 offset:640                    // 0000000039E0: D8EC0280 A40000DD
	ds_read_b64 v[166:167], v221 offset:768                    // 0000000039E8: D8EC0300 A60000DD
	ds_read_b64 v[168:169], v221 offset:896                    // 0000000039F0: D8EC0380 A80000DD
	ds_read_b64 v[170:171], v221 offset:1024                   // 0000000039F8: D8EC0400 AA0000DD
	ds_read_b64 v[172:173], v221 offset:1152                   // 000000003A00: D8EC0480 AC0000DD
	ds_read_b64 v[174:175], v221 offset:1280                   // 000000003A08: D8EC0500 AE0000DD
	ds_read_b64 v[176:177], v221 offset:1408                   // 000000003A10: D8EC0580 B00000DD
	ds_read_b64 v[178:179], v221 offset:1536                   // 000000003A18: D8EC0600 B20000DD
	ds_read_b64 v[180:181], v221 offset:1664                   // 000000003A20: D8EC0680 B40000DD
	ds_read_b64 v[182:183], v221 offset:1792                   // 000000003A28: D8EC0700 B60000DD
	ds_read_b64 v[184:185], v221 offset:1920                   // 000000003A30: D8EC0780 B80000DD
	v_pk_mul_f32 v[92:93], v[132:133], v[92:93]                // 000000003A38: D3B1405C 1802B984
	v_pk_mul_f32 v[94:95], v[132:133], v[94:95]                // 000000003A40: D3B1405E 1802BD84
	v_pk_mul_f32 v[96:97], v[132:133], v[96:97]                // 000000003A48: D3B14060 1802C184
	v_pk_mul_f32 v[98:99], v[132:133], v[98:99]                // 000000003A50: D3B14062 1802C584
	v_pk_mul_f32 v[100:101], v[134:135], v[100:101]            // 000000003A58: D3B14064 1802C986
	v_pk_mul_f32 v[102:103], v[134:135], v[102:103]            // 000000003A60: D3B14066 1802CD86
	v_pk_mul_f32 v[104:105], v[134:135], v[104:105]            // 000000003A68: D3B14068 1802D186
	v_pk_mul_f32 v[106:107], v[134:135], v[106:107]            // 000000003A70: D3B1406A 1802D586
	s_waitcnt lgkmcnt(0)                                       // 000000003A78: BF8CC07F
	v_max3_f32 v150, v154, v156, v150                          // 000000003A7C: D1D30096 065B399A
	v_max3_f32 v151, v155, v157, v151                          // 000000003A84: D1D30097 065F3B9B
	v_max3_f32 v150, v158, v160, v150                          // 000000003A8C: D1D30096 065B419E
	v_max3_f32 v151, v159, v161, v151                          // 000000003A94: D1D30097 065F439F
	v_max3_f32 v150, v162, v164, v150                          // 000000003A9C: D1D30096 065B49A2
	v_max3_f32 v151, v163, v165, v151                          // 000000003AA4: D1D30097 065F4BA3
	v_max3_f32 v150, v166, v168, v150                          // 000000003AAC: D1D30096 065B51A6
	v_max3_f32 v151, v167, v169, v151                          // 000000003AB4: D1D30097 065F53A7
	v_max3_f32 v150, v170, v172, v150                          // 000000003ABC: D1D30096 065B59AA
	v_max3_f32 v151, v171, v173, v151                          // 000000003AC4: D1D30097 065F5BAB
	v_max3_f32 v150, v174, v176, v150                          // 000000003ACC: D1D30096 065B61AE
	v_max3_f32 v151, v175, v177, v151                          // 000000003AD4: D1D30097 065F63AF
	v_max3_f32 v150, v178, v180, v150                          // 000000003ADC: D1D30096 065B69B2
	v_max3_f32 v151, v179, v181, v151                          // 000000003AE4: D1D30097 065F6BB3
	v_max3_f32 v150, v182, v184, v150                          // 000000003AEC: D1D30096 065B71B6
	v_max3_f32 v151, v183, v185, v151                          // 000000003AF4: D1D30097 065F73B7
	v_max_f32_e32 v140, v150, v138                             // 000000003AFC: 17191596
	v_mul_f32_e64 v186, -s46, v140                             // 000000003B00: D10500BA 2003182E
	v_mov_b32_e32 v187, v186                                   // 000000003B08: 7F7603BA
	v_pk_fma_f32 v[28:29], v[28:29], s[46:47], v[186:187]      // 000000003B0C: D3B0401C 1EE85D1C
	v_pk_fma_f32 v[30:31], v[30:31], s[46:47], v[186:187]      // 000000003B14: D3B0401E 1EE85D1E
	v_exp_f32_e32 v28, v28                                     // 000000003B1C: 7E38411C
	v_exp_f32_e32 v29, v29                                     // 000000003B20: 7E3A411D
	v_exp_f32_e32 v30, v30                                     // 000000003B24: 7E3C411E
	v_exp_f32_e32 v31, v31                                     // 000000003B28: 7E3E411F
	v_pk_fma_f32 v[32:33], v[32:33], s[46:47], v[186:187]      // 000000003B2C: D3B04020 1EE85D20
	v_pk_fma_f32 v[34:35], v[34:35], s[46:47], v[186:187]      // 000000003B34: D3B04022 1EE85D22
	v_exp_f32_e32 v32, v32                                     // 000000003B3C: 7E404120
	v_exp_f32_e32 v33, v33                                     // 000000003B40: 7E424121
	v_exp_f32_e32 v34, v34                                     // 000000003B44: 7E444122
	v_exp_f32_e32 v35, v35                                     // 000000003B48: 7E464123
	v_pk_fma_f32 v[36:37], v[36:37], s[46:47], v[186:187]      // 000000003B4C: D3B04024 1EE85D24
	v_pk_fma_f32 v[38:39], v[38:39], s[46:47], v[186:187]      // 000000003B54: D3B04026 1EE85D26
	v_exp_f32_e32 v36, v36                                     // 000000003B5C: 7E484124
	v_exp_f32_e32 v37, v37                                     // 000000003B60: 7E4A4125
	v_exp_f32_e32 v38, v38                                     // 000000003B64: 7E4C4126
	v_exp_f32_e32 v39, v39                                     // 000000003B68: 7E4E4127
	v_pk_fma_f32 v[40:41], v[40:41], s[46:47], v[186:187]      // 000000003B6C: D3B04028 1EE85D28
	v_pk_fma_f32 v[42:43], v[42:43], s[46:47], v[186:187]      // 000000003B74: D3B0402A 1EE85D2A
	v_exp_f32_e32 v40, v40                                     // 000000003B7C: 7E504128
	v_exp_f32_e32 v41, v41                                     // 000000003B80: 7E524129
	v_exp_f32_e32 v42, v42                                     // 000000003B84: 7E54412A
	v_exp_f32_e32 v43, v43                                     // 000000003B88: 7E56412B
	v_max_f32_e32 v141, v151, v139                             // 000000003B8C: 171B1797
	v_mul_f32_e64 v186, -s46, v141                             // 000000003B90: D10500BA 20031A2E
	v_mov_b32_e32 v187, v186                                   // 000000003B98: 7F7603BA
	v_pk_fma_f32 v[44:45], v[44:45], s[46:47], v[186:187]      // 000000003B9C: D3B0402C 1EE85D2C
	v_pk_fma_f32 v[46:47], v[46:47], s[46:47], v[186:187]      // 000000003BA4: D3B0402E 1EE85D2E
	v_exp_f32_e32 v44, v44                                     // 000000003BAC: 7E58412C
	v_exp_f32_e32 v45, v45                                     // 000000003BB0: 7E5A412D
	v_exp_f32_e32 v46, v46                                     // 000000003BB4: 7E5C412E
	v_exp_f32_e32 v47, v47                                     // 000000003BB8: 7E5E412F
	v_pk_fma_f32 v[48:49], v[48:49], s[46:47], v[186:187]      // 000000003BBC: D3B04030 1EE85D30
	v_pk_fma_f32 v[50:51], v[50:51], s[46:47], v[186:187]      // 000000003BC4: D3B04032 1EE85D32
	v_exp_f32_e32 v48, v48                                     // 000000003BCC: 7E604130
	v_exp_f32_e32 v49, v49                                     // 000000003BD0: 7E624131
	v_exp_f32_e32 v50, v50                                     // 000000003BD4: 7E644132
	v_exp_f32_e32 v51, v51                                     // 000000003BD8: 7E664133
	v_pk_fma_f32 v[52:53], v[52:53], s[46:47], v[186:187]      // 000000003BDC: D3B04034 1EE85D34
	v_pk_fma_f32 v[54:55], v[54:55], s[46:47], v[186:187]      // 000000003BE4: D3B04036 1EE85D36
	v_exp_f32_e32 v52, v52                                     // 000000003BEC: 7E684134
	v_exp_f32_e32 v53, v53                                     // 000000003BF0: 7E6A4135
	v_exp_f32_e32 v54, v54                                     // 000000003BF4: 7E6C4136
	v_exp_f32_e32 v55, v55                                     // 000000003BF8: 7E6E4137
	v_pk_fma_f32 v[56:57], v[56:57], s[46:47], v[186:187]      // 000000003BFC: D3B04038 1EE85D38
	v_pk_fma_f32 v[58:59], v[58:59], s[46:47], v[186:187]      // 000000003C04: D3B0403A 1EE85D3A
	v_exp_f32_e32 v56, v56                                     // 000000003C0C: 7E704138
	v_exp_f32_e32 v57, v57                                     // 000000003C10: 7E724139
	v_exp_f32_e32 v58, v58                                     // 000000003C14: 7E74413A
	v_exp_f32_e32 v59, v59                                     // 000000003C18: 7E76413B
	v_mul_f32_dpp v60, v130, v28 row_newbcast:0 row_mask:0xf bank_mask:0xf// 000000003C1C: 0A7838FA FF015082
	v_mul_f32_dpp v61, v130, v29 row_newbcast:1 row_mask:0xf bank_mask:0xf// 000000003C24: 0A7A3AFA FF015182
	v_mul_f32_dpp v62, v130, v30 row_newbcast:2 row_mask:0xf bank_mask:0xf// 000000003C2C: 0A7C3CFA FF015282
	v_mul_f32_dpp v63, v130, v31 row_newbcast:3 row_mask:0xf bank_mask:0xf// 000000003C34: 0A7E3EFA FF015382
	v_mul_f32_dpp v64, v130, v32 row_newbcast:4 row_mask:0xf bank_mask:0xf// 000000003C3C: 0A8040FA FF015482
	v_mul_f32_dpp v65, v130, v33 row_newbcast:5 row_mask:0xf bank_mask:0xf// 000000003C44: 0A8242FA FF015582
	v_mul_f32_dpp v66, v130, v34 row_newbcast:6 row_mask:0xf bank_mask:0xf// 000000003C4C: 0A8444FA FF015682
	v_mul_f32_dpp v67, v130, v35 row_newbcast:7 row_mask:0xf bank_mask:0xf// 000000003C54: 0A8646FA FF015782
	v_mul_f32_dpp v68, v130, v36 row_newbcast:8 row_mask:0xf bank_mask:0xf// 000000003C5C: 0A8848FA FF015882
	v_mul_f32_dpp v69, v130, v37 row_newbcast:9 row_mask:0xf bank_mask:0xf// 000000003C64: 0A8A4AFA FF015982
	v_mul_f32_dpp v70, v130, v38 row_newbcast:10 row_mask:0xf bank_mask:0xf// 000000003C6C: 0A8C4CFA FF015A82
	v_mul_f32_dpp v71, v130, v39 row_newbcast:11 row_mask:0xf bank_mask:0xf// 000000003C74: 0A8E4EFA FF015B82
	v_mul_f32_dpp v72, v130, v40 row_newbcast:12 row_mask:0xf bank_mask:0xf// 000000003C7C: 0A9050FA FF015C82
	v_mul_f32_dpp v73, v130, v41 row_newbcast:13 row_mask:0xf bank_mask:0xf// 000000003C84: 0A9252FA FF015D82
	v_mul_f32_dpp v74, v130, v42 row_newbcast:14 row_mask:0xf bank_mask:0xf// 000000003C8C: 0A9454FA FF015E82
	v_mul_f32_dpp v75, v130, v43 row_newbcast:15 row_mask:0xf bank_mask:0xf// 000000003C94: 0A9656FA FF015F82
	v_mul_f32_dpp v76, v130, v44 row_newbcast:0 row_mask:0xf bank_mask:0xf// 000000003C9C: 0A9858FA FF015082
	v_mul_f32_dpp v77, v130, v45 row_newbcast:1 row_mask:0xf bank_mask:0xf// 000000003CA4: 0A9A5AFA FF015182
	v_mul_f32_dpp v78, v130, v46 row_newbcast:2 row_mask:0xf bank_mask:0xf// 000000003CAC: 0A9C5CFA FF015282
	v_mul_f32_dpp v79, v130, v47 row_newbcast:3 row_mask:0xf bank_mask:0xf// 000000003CB4: 0A9E5EFA FF015382
	v_mul_f32_dpp v80, v130, v48 row_newbcast:4 row_mask:0xf bank_mask:0xf// 000000003CBC: 0AA060FA FF015482
	v_mul_f32_dpp v81, v130, v49 row_newbcast:5 row_mask:0xf bank_mask:0xf// 000000003CC4: 0AA262FA FF015582
	v_mul_f32_dpp v82, v130, v50 row_newbcast:6 row_mask:0xf bank_mask:0xf// 000000003CCC: 0AA464FA FF015682
	v_mul_f32_dpp v83, v130, v51 row_newbcast:7 row_mask:0xf bank_mask:0xf// 000000003CD4: 0AA666FA FF015782
	v_mul_f32_dpp v84, v130, v52 row_newbcast:8 row_mask:0xf bank_mask:0xf// 000000003CDC: 0AA868FA FF015882
	v_mul_f32_dpp v85, v130, v53 row_newbcast:9 row_mask:0xf bank_mask:0xf// 000000003CE4: 0AAA6AFA FF015982
	v_mul_f32_dpp v86, v130, v54 row_newbcast:10 row_mask:0xf bank_mask:0xf// 000000003CEC: 0AAC6CFA FF015A82
	v_mul_f32_dpp v87, v130, v55 row_newbcast:11 row_mask:0xf bank_mask:0xf// 000000003CF4: 0AAE6EFA FF015B82
	v_mul_f32_dpp v88, v130, v56 row_newbcast:12 row_mask:0xf bank_mask:0xf// 000000003CFC: 0AB070FA FF015C82
	v_mul_f32_dpp v89, v130, v57 row_newbcast:13 row_mask:0xf bank_mask:0xf// 000000003D04: 0AB272FA FF015D82
	v_mul_f32_dpp v90, v130, v58 row_newbcast:14 row_mask:0xf bank_mask:0xf// 000000003D0C: 0AB474FA FF015E82
	v_mul_f32_dpp v91, v130, v59 row_newbcast:15 row_mask:0xf bank_mask:0xf// 000000003D14: 0AB676FA FF015F82
	v_mov_b32_e32 v150, 0x358637bd                             // 000000003D1C: 7F2C02FF 358637BD
	v_max3_f32 v150, |v60|, |v61|, v150                        // 000000003D24: D1D30396 065A7B3C
	v_max3_f32 v150, |v62|, |v63|, v150                        // 000000003D2C: D1D30396 065A7F3E
	v_max3_f32 v150, |v64|, |v65|, v150                        // 000000003D34: D1D30396 065A8340
	v_max3_f32 v150, |v66|, |v67|, v150                        // 000000003D3C: D1D30396 065A8742
	v_max3_f32 v150, |v68|, |v69|, v150                        // 000000003D44: D1D30396 065A8B44
	v_max3_f32 v150, |v70|, |v71|, v150                        // 000000003D4C: D1D30396 065A8F46
	v_max3_f32 v150, |v72|, |v73|, v150                        // 000000003D54: D1D30396 065A9348
	v_max3_f32 v150, |v74|, |v75|, v150                        // 000000003D5C: D1D30396 065A974A
	v_mov_b32_e32 v151, 0x358637bd                             // 000000003D64: 7F2E02FF 358637BD
	v_max3_f32 v151, |v76|, |v77|, v151                        // 000000003D6C: D1D30397 065E9B4C
	v_max3_f32 v151, |v78|, |v79|, v151                        // 000000003D74: D1D30397 065E9F4E
	v_max3_f32 v151, |v80|, |v81|, v151                        // 000000003D7C: D1D30397 065EA350
	v_max3_f32 v151, |v82|, |v83|, v151                        // 000000003D84: D1D30397 065EA752
	v_max3_f32 v151, |v84|, |v85|, v151                        // 000000003D8C: D1D30397 065EAB54
	v_max3_f32 v151, |v86|, |v87|, v151                        // 000000003D94: D1D30397 065EAF56
	v_max3_f32 v151, |v88|, |v89|, v151                        // 000000003D9C: D1D30397 065EB358
	v_max3_f32 v151, |v90|, |v91|, v151                        // 000000003DA4: D1D30397 065EB75A
	ds_write_b64 v220, v[150:151] offset:2304                  // 000000003DAC: D89A0900 000096DC
	buffer_load_dword v129, v208, s[20:23], 0 offen            // 000000003DB4: E0501000 800581D0
	v_sub_f32_e32 v142, v138, v140                             // 000000003DBC: 051D198A
	v_cmp_eq_u32_e64 s[98:99], v197, v138                      // 000000003DC0: D0CA0062 000315C5
	v_cndmask_b32_e64 v142, v142, 0, s[98:99]                  // 000000003DC8: D100008E 0189018E
	v_mov_b32_e32 v138, v140                                   // 000000003DD0: 7F14038C
	v_mul_f32_e32 v142, s46, v142                              // 000000003DD4: 0B1D1C2E
	v_exp_f32_e32 v142, v142                                   // 000000003DD8: 7F1C418E
	v_sub_f32_e32 v144, v139, v141                             // 000000003DDC: 05211B8B
	v_cmp_eq_u32_e64 s[98:99], v197, v139                      // 000000003DE0: D0CA0062 000317C5
	v_cndmask_b32_e64 v144, v144, 0, s[98:99]                  // 000000003DE8: D1000090 01890190
	v_mov_b32_e32 v139, v141                                   // 000000003DF0: 7F16038D
	v_mul_f32_e32 v144, s46, v144                              // 000000003DF4: 0B21202E
	v_exp_f32_e32 v144, v144                                   // 000000003DF8: 7F204190
	v_mov_b32_e32 v143, v142                                   // 000000003DFC: 7F1E038E
	v_mov_b32_e32 v145, v144                                   // 000000003E00: 7F220390
	buffer_load_dword v131, v209, s[24:27], 0 offen            // 000000003E04: E0501000 800683D1
	s_waitcnt lgkmcnt(0)                                       // 000000003E0C: BF8CC07F
	s_barrier                                                  // 000000003E10: BF8A0000
	ds_read_b64 v[154:155], v221 offset:2304                   // 000000003E14: D8EC0900 9A0000DD
	ds_read_b64 v[156:157], v221 offset:2432                   // 000000003E1C: D8EC0980 9C0000DD
	ds_read_b64 v[158:159], v221 offset:2560                   // 000000003E24: D8EC0A00 9E0000DD
	ds_read_b64 v[160:161], v221 offset:2688                   // 000000003E2C: D8EC0A80 A00000DD
	ds_read_b64 v[162:163], v221 offset:2816                   // 000000003E34: D8EC0B00 A20000DD
	ds_read_b64 v[164:165], v221 offset:2944                   // 000000003E3C: D8EC0B80 A40000DD
	ds_read_b64 v[166:167], v221 offset:3072                   // 000000003E44: D8EC0C00 A60000DD
	ds_read_b64 v[168:169], v221 offset:3200                   // 000000003E4C: D8EC0C80 A80000DD
	ds_read_b64 v[170:171], v221 offset:3328                   // 000000003E54: D8EC0D00 AA0000DD
	ds_read_b64 v[172:173], v221 offset:3456                   // 000000003E5C: D8EC0D80 AC0000DD
	ds_read_b64 v[174:175], v221 offset:3584                   // 000000003E64: D8EC0E00 AE0000DD
	ds_read_b64 v[176:177], v221 offset:3712                   // 000000003E6C: D8EC0E80 B00000DD
	ds_read_b64 v[178:179], v221 offset:3840                   // 000000003E74: D8EC0F00 B20000DD
	ds_read_b64 v[180:181], v221 offset:3968                   // 000000003E7C: D8EC0F80 B40000DD
	ds_read_b64 v[182:183], v221 offset:4096                   // 000000003E84: D8EC1000 B60000DD
	ds_read_b64 v[184:185], v221 offset:4224                   // 000000003E8C: D8EC1080 B80000DD
	v_mul_f32_e32 v146, v142, v146                             // 000000003E94: 0B25258E
	v_mov_b32_e32 v147, 0                                      // 000000003E98: 7F260280
	v_pk_add_f32 v[146:147], v[28:29], v[146:147]              // 000000003E9C: D3B24092 1803251C
	v_pk_add_f32 v[146:147], v[30:31], v[146:147]              // 000000003EA4: D3B24092 1803251E
	v_pk_add_f32 v[146:147], v[32:33], v[146:147]              // 000000003EAC: D3B24092 18032520
	v_pk_add_f32 v[146:147], v[34:35], v[146:147]              // 000000003EB4: D3B24092 18032522
	v_pk_add_f32 v[146:147], v[36:37], v[146:147]              // 000000003EBC: D3B24092 18032524
	v_pk_add_f32 v[146:147], v[38:39], v[146:147]              // 000000003EC4: D3B24092 18032526
	v_pk_add_f32 v[146:147], v[40:41], v[146:147]              // 000000003ECC: D3B24092 18032528
	v_pk_add_f32 v[146:147], v[42:43], v[146:147]              // 000000003ED4: D3B24092 1803252A
	v_add_f32_e32 v146, v147, v146                             // 000000003EDC: 03252593
	v_mul_f32_e32 v148, v144, v148                             // 000000003EE0: 0B292990
	v_mov_b32_e32 v149, 0                                      // 000000003EE4: 7F2A0280
	v_pk_add_f32 v[148:149], v[44:45], v[148:149]              // 000000003EE8: D3B24094 1803292C
	v_pk_add_f32 v[148:149], v[46:47], v[148:149]              // 000000003EF0: D3B24094 1803292E
	v_pk_add_f32 v[148:149], v[48:49], v[148:149]              // 000000003EF8: D3B24094 18032930
	v_pk_add_f32 v[148:149], v[50:51], v[148:149]              // 000000003F00: D3B24094 18032932
	v_pk_add_f32 v[148:149], v[52:53], v[148:149]              // 000000003F08: D3B24094 18032934
	v_pk_add_f32 v[148:149], v[54:55], v[148:149]              // 000000003F10: D3B24094 18032936
	v_pk_add_f32 v[148:149], v[56:57], v[148:149]              // 000000003F18: D3B24094 18032938
	v_pk_add_f32 v[148:149], v[58:59], v[148:149]              // 000000003F20: D3B24094 1803293A
	v_add_f32_e32 v148, v149, v148                             // 000000003F28: 03292995
	s_waitcnt lgkmcnt(0)                                       // 000000003F2C: BF8CC07F
	v_max3_f32 v150, v154, v156, v150                          // 000000003F30: D1D30096 065B399A
	v_max3_f32 v151, v155, v157, v151                          // 000000003F38: D1D30097 065F3B9B
	v_max3_f32 v150, v158, v160, v150                          // 000000003F40: D1D30096 065B419E
	v_max3_f32 v151, v159, v161, v151                          // 000000003F48: D1D30097 065F439F
	v_max3_f32 v150, v162, v164, v150                          // 000000003F50: D1D30096 065B49A2
	v_max3_f32 v151, v163, v165, v151                          // 000000003F58: D1D30097 065F4BA3
	v_max3_f32 v150, v166, v168, v150                          // 000000003F60: D1D30096 065B51A6
	v_max3_f32 v151, v167, v169, v151                          // 000000003F68: D1D30097 065F53A7
	v_max3_f32 v150, v170, v172, v150                          // 000000003F70: D1D30096 065B59AA
	v_max3_f32 v151, v171, v173, v151                          // 000000003F78: D1D30097 065F5BAB
	v_max3_f32 v150, v174, v176, v150                          // 000000003F80: D1D30096 065B61AE
	v_max3_f32 v151, v175, v177, v151                          // 000000003F88: D1D30097 065F63AF
	v_max3_f32 v150, v178, v180, v150                          // 000000003F90: D1D30096 065B69B2
	v_max3_f32 v151, v179, v181, v151                          // 000000003F98: D1D30097 065F6BB3
	v_max3_f32 v150, v182, v184, v150                          // 000000003FA0: D1D30096 065B71B6
	v_max3_f32 v151, v183, v185, v151                          // 000000003FA8: D1D30097 065F73B7
	v_rcp_f32_e32 v150, v150                                   // 000000003FB0: 7F2C4596
	v_rcp_f32_e32 v151, v151                                   // 000000003FB4: 7F2E4597
	v_mul_f32_e32 v150, 0x43700000, v150                       // 000000003FB8: 0B2D2CFF 43700000
	v_mul_f32_e32 v151, 0x43700000, v151                       // 000000003FC0: 0B2F2EFF 43700000
	v_mov_b32_e32 v152, v151                                   // 000000003FC8: 7F300397
	v_mov_b32_e32 v153, v151                                   // 000000003FCC: 7F320397
	v_mov_b32_e32 v151, v150                                   // 000000003FD0: 7F2E0396
	v_pk_mul_f32 v[28:29], v[150:151], v[60:61]                // 000000003FD4: D3B1401C 18027996
	v_pk_mul_f32 v[30:31], v[150:151], v[62:63]                // 000000003FDC: D3B1401E 18027D96
	v_pk_mul_f32 v[32:33], v[150:151], v[64:65]                // 000000003FE4: D3B14020 18028196
	v_pk_mul_f32 v[34:35], v[150:151], v[66:67]                // 000000003FEC: D3B14022 18028596
	v_pk_mul_f32 v[36:37], v[150:151], v[68:69]                // 000000003FF4: D3B14024 18028996
	v_pk_mul_f32 v[38:39], v[150:151], v[70:71]                // 000000003FFC: D3B14026 18028D96
	v_pk_mul_f32 v[40:41], v[150:151], v[72:73]                // 000000004004: D3B14028 18029196
	v_pk_mul_f32 v[42:43], v[150:151], v[74:75]                // 00000000400C: D3B1402A 18029596
	v_pk_mul_f32 v[44:45], v[152:153], v[76:77]                // 000000004014: D3B1402C 18029998
	v_pk_mul_f32 v[46:47], v[152:153], v[78:79]                // 00000000401C: D3B1402E 18029D98
	v_pk_mul_f32 v[48:49], v[152:153], v[80:81]                // 000000004024: D3B14030 1802A198
	v_pk_mul_f32 v[50:51], v[152:153], v[82:83]                // 00000000402C: D3B14032 1802A598
	v_pk_mul_f32 v[52:53], v[152:153], v[84:85]                // 000000004034: D3B14034 1802A998
	v_pk_mul_f32 v[54:55], v[152:153], v[86:87]                // 00000000403C: D3B14036 1802AD98
	v_pk_mul_f32 v[56:57], v[152:153], v[88:89]                // 000000004044: D3B14038 1802B198
	v_pk_mul_f32 v[58:59], v[152:153], v[90:91]                // 00000000404C: D3B1403A 1802B598
	v_cvt_pk_fp8_f32 v28, v28, v29                             // 000000004054: D2A2001C 00023B1C
	v_cvt_pk_fp8_f32 v28, v30, v31 op_sel:[0,0,1]              // 00000000405C: D2A2401C 00023F1E
	v_cvt_pk_fp8_f32 v29, v32, v33                             // 000000004064: D2A2001D 00024320
	v_cvt_pk_fp8_f32 v29, v34, v35 op_sel:[0,0,1]              // 00000000406C: D2A2401D 00024722
	v_cvt_pk_fp8_f32 v30, v36, v37                             // 000000004074: D2A2001E 00024B24
	v_cvt_pk_fp8_f32 v30, v38, v39 op_sel:[0,0,1]              // 00000000407C: D2A2401E 00024F26
	v_cvt_pk_fp8_f32 v31, v40, v41                             // 000000004084: D2A2001F 00025328
	v_cvt_pk_fp8_f32 v31, v42, v43 op_sel:[0,0,1]              // 00000000408C: D2A2401F 0002572A
	v_cvt_pk_fp8_f32 v32, v44, v45                             // 000000004094: D2A20020 00025B2C
	v_cvt_pk_fp8_f32 v32, v46, v47 op_sel:[0,0,1]              // 00000000409C: D2A24020 00025F2E
	v_cvt_pk_fp8_f32 v33, v48, v49                             // 0000000040A4: D2A20021 00026330
	v_cvt_pk_fp8_f32 v33, v50, v51 op_sel:[0,0,1]              // 0000000040AC: D2A24021 00026732
	v_cvt_pk_fp8_f32 v34, v52, v53                             // 0000000040B4: D2A20022 00026B34
	v_cvt_pk_fp8_f32 v34, v54, v55 op_sel:[0,0,1]              // 0000000040BC: D2A24022 00026F36
	v_cvt_pk_fp8_f32 v35, v56, v57                             // 0000000040C4: D2A20023 00027338
	v_cvt_pk_fp8_f32 v35, v58, v59 op_sel:[0,0,1]              // 0000000040CC: D2A24023 0002773A
	ds_write_b32 v222, v28 offset:4608                         // 0000000040D4: D81A1200 00001CDE
	ds_write_b32 v222, v29 offset:5632                         // 0000000040DC: D81A1600 00001DDE
	ds_write_b32 v222, v30 offset:6656                         // 0000000040E4: D81A1A00 00001EDE
	ds_write_b32 v222, v31 offset:7680                         // 0000000040EC: D81A1E00 00001FDE
	ds_write_b32 v222, v32 offset:8704                         // 0000000040F4: D81A2200 000020DE
	ds_write_b32 v222, v33 offset:9728                         // 0000000040FC: D81A2600 000021DE
	ds_write_b32 v222, v34 offset:10752                        // 000000004104: D81A2A00 000022DE
	ds_write_b32 v222, v35 offset:11776                        // 00000000410C: D81A2E00 000023DE
	v_rcp_f32_e32 v132, v150                                   // 000000004114: 7F084596
	v_rcp_f32_e32 v134, v152                                   // 000000004118: 7F0C4598
	v_mov_b32_e32 v133, v132                                   // 00000000411C: 7F0A0384
	v_mov_b32_e32 v135, v134                                   // 000000004120: 7F0E0386
	v_pk_add_f32 v[108:109], v[108:109], v[92:93]              // 000000004124: D3B2406C 1802B96C
	v_pk_add_f32 v[110:111], v[110:111], v[94:95]              // 00000000412C: D3B2406E 1802BD6E
	v_pk_add_f32 v[112:113], v[112:113], v[96:97]              // 000000004134: D3B24070 1802C170
	v_pk_add_f32 v[114:115], v[114:115], v[98:99]              // 00000000413C: D3B24072 1802C572
	v_pk_add_f32 v[116:117], v[116:117], v[100:101]            // 000000004144: D3B24074 1802C974
	v_pk_add_f32 v[118:119], v[118:119], v[102:103]            // 00000000414C: D3B24076 1802CD76
	v_pk_add_f32 v[120:121], v[120:121], v[104:105]            // 000000004154: D3B24078 1802D178
	v_pk_add_f32 v[122:123], v[122:123], v[106:107]            // 00000000415C: D3B2407A 1802D57A
	s_waitcnt lgkmcnt(0)                                       // 000000004164: BF8CC07F
	s_barrier                                                  // 000000004168: BF8A0000
	ds_read_b128 v[28:31], v223 offset:4608                    // 00000000416C: D9FE1200 1C0000DF
	ds_read_b128 v[32:35], v223 offset:5632                    // 000000004174: D9FE1600 200000DF
	ds_read_b128 v[36:39], v223 offset:6656                    // 00000000417C: D9FE1A00 240000DF
	ds_read_b128 v[40:43], v223 offset:7680                    // 000000004184: D9FE1E00 280000DF
	ds_read_b128 v[44:47], v223 offset:8704                    // 00000000418C: D9FE2200 2C0000DF
	ds_read_b128 v[48:51], v223 offset:9728                    // 000000004194: D9FE2600 300000DF
	ds_read_b128 v[52:55], v223 offset:10752                   // 00000000419C: D9FE2A00 340000DF
	ds_read_b128 v[56:59], v223 offset:11776                   // 0000000041A4: D9FE2E00 380000DF
	s_waitcnt vmcnt(10)                                        // 0000000041AC: BF8C0F7A
	s_waitcnt lgkmcnt(7)                                       // 0000000041B0: BF8CC77F
	v_mfma_f32_16x16x32_fp8_fp8 v[92:95], a[64:65], v[28:29], 0// 0000000041B4: D3F3005C 0A023940
	s_lshl_b32 s68, s76, 2                                     // 0000000041BC: 8E44824C
	v_mfma_f32_16x16x32_fp8_fp8 v[96:99], a[80:81], v[28:29], 0// 0000000041C0: D3F30060 0A023950
	s_cmp_lt_u32 s76, s77                                      // 0000000041C8: BF0A4D4C
	s_cselect_b32 s68, s68, 0                                  // 0000000041CC: 85448044
	v_mfma_f32_16x16x32_fp8_fp8 v[92:95], a[66:67], v[30:31], v[92:95]// 0000000041D0: D3F3005C 0D723D42
	buffer_load_dwordx4 a[96:99], v204, s[16:19], 0 offen      // 0000000041D8: E05C1000 808460CC
	v_mfma_f32_16x16x32_fp8_fp8 v[96:99], a[82:83], v[30:31], v[96:99]// 0000000041E0: D3F30060 0D823D52
	s_addk_i32 s76, 0x1                                        // 0000000041E8: B74C0001
	s_waitcnt lgkmcnt(6)                                       // 0000000041EC: BF8CC67F
	v_mfma_f32_16x16x32_fp8_fp8 v[92:95], a[68:69], v[32:33], v[92:95]// 0000000041F0: D3F3005C 0D724144
	v_mfma_f32_16x16x32_fp8_fp8 v[96:99], a[84:85], v[32:33], v[96:99]// 0000000041F8: D3F30060 0D824154
	v_mfma_f32_16x16x32_fp8_fp8 v[92:95], a[70:71], v[34:35], v[92:95]// 000000004200: D3F3005C 0D724546
	buffer_load_dwordx4 a[100:103], v205, s[16:19], 0 offen    // 000000004208: E05C1000 808464CD
	v_mfma_f32_16x16x32_fp8_fp8 v[96:99], a[86:87], v[34:35], v[96:99]// 000000004210: D3F30060 0D824556
	s_waitcnt lgkmcnt(5)                                       // 000000004218: BF8CC57F
	v_mfma_f32_16x16x32_fp8_fp8 v[92:95], a[72:73], v[36:37], v[92:95]// 00000000421C: D3F3005C 0D724948
	v_mfma_f32_16x16x32_fp8_fp8 v[96:99], a[88:89], v[36:37], v[96:99]// 000000004224: D3F30060 0D824958
	v_mfma_f32_16x16x32_fp8_fp8 v[92:95], a[74:75], v[38:39], v[92:95]// 00000000422C: D3F3005C 0D724D4A
	buffer_load_dwordx4 a[104:107], v206, s[16:19], 0 offen    // 000000004234: E05C1000 808468CE
	v_mfma_f32_16x16x32_fp8_fp8 v[96:99], a[90:91], v[38:39], v[96:99]// 00000000423C: D3F30060 0D824D5A
	s_waitcnt lgkmcnt(4)                                       // 000000004244: BF8CC47F
	v_mfma_f32_16x16x32_fp8_fp8 v[92:95], a[76:77], v[40:41], v[92:95]// 000000004248: D3F3005C 0D72514C
	v_mfma_f32_16x16x32_fp8_fp8 v[96:99], a[92:93], v[40:41], v[96:99]// 000000004250: D3F30060 0D82515C
	v_mfma_f32_16x16x32_fp8_fp8 v[92:95], a[78:79], v[42:43], v[92:95]// 000000004258: D3F3005C 0D72554E
	buffer_load_dwordx4 a[108:111], v207, s[16:19], 0 offen    // 000000004260: E05C1000 80846CCF
	v_mfma_f32_16x16x32_fp8_fp8 v[96:99], a[94:95], v[42:43], v[96:99]// 000000004268: D3F30060 0D82555E
	s_waitcnt lgkmcnt(3)                                       // 000000004270: BF8CC37F
	v_mfma_f32_16x16x32_fp8_fp8 v[100:103], a[64:65], v[44:45], 0// 000000004274: D3F30064 0A025940
	v_mfma_f32_16x16x32_fp8_fp8 v[104:107], a[80:81], v[44:45], 0// 00000000427C: D3F30068 0A025950
	v_mfma_f32_16x16x32_fp8_fp8 v[100:103], a[66:67], v[46:47], v[100:103]// 000000004284: D3F30064 0D925D42
	buffer_load_dwordx4 a[112:115], v204, s[16:19], 0 offen offset:1024// 00000000428C: E05C1400 808470CC
	v_mfma_f32_16x16x32_fp8_fp8 v[104:107], a[82:83], v[46:47], v[104:107]// 000000004294: D3F30068 0DA25D52
	s_waitcnt lgkmcnt(2)                                       // 00000000429C: BF8CC27F
	v_mfma_f32_16x16x32_fp8_fp8 v[100:103], a[68:69], v[48:49], v[100:103]// 0000000042A0: D3F30064 0D926144
	v_mfma_f32_16x16x32_fp8_fp8 v[104:107], a[84:85], v[48:49], v[104:107]// 0000000042A8: D3F30068 0DA26154
	v_mfma_f32_16x16x32_fp8_fp8 v[100:103], a[70:71], v[50:51], v[100:103]// 0000000042B0: D3F30064 0D926546
	buffer_load_dwordx4 a[116:119], v205, s[16:19], 0 offen offset:1024// 0000000042B8: E05C1400 808474CD
	v_mfma_f32_16x16x32_fp8_fp8 v[104:107], a[86:87], v[50:51], v[104:107]// 0000000042C0: D3F30068 0DA26556
	s_waitcnt lgkmcnt(1)                                       // 0000000042C8: BF8CC17F
	v_mfma_f32_16x16x32_fp8_fp8 v[100:103], a[72:73], v[52:53], v[100:103]// 0000000042CC: D3F30064 0D926948
	v_mfma_f32_16x16x32_fp8_fp8 v[104:107], a[88:89], v[52:53], v[104:107]// 0000000042D4: D3F30068 0DA26958
	v_mfma_f32_16x16x32_fp8_fp8 v[100:103], a[74:75], v[54:55], v[100:103]// 0000000042DC: D3F30064 0D926D4A
	buffer_load_dwordx4 a[120:123], v206, s[16:19], 0 offen offset:1024// 0000000042E4: E05C1400 808478CE
	v_mfma_f32_16x16x32_fp8_fp8 v[104:107], a[90:91], v[54:55], v[104:107]// 0000000042EC: D3F30068 0DA26D5A
	s_waitcnt lgkmcnt(0)                                       // 0000000042F4: BF8CC07F
	v_mfma_f32_16x16x32_fp8_fp8 v[100:103], a[76:77], v[56:57], v[100:103]// 0000000042F8: D3F30064 0D92714C
	v_mfma_f32_16x16x32_fp8_fp8 v[104:107], a[92:93], v[56:57], v[104:107]// 000000004300: D3F30068 0DA2715C
	v_mfma_f32_16x16x32_fp8_fp8 v[100:103], a[78:79], v[58:59], v[100:103]// 000000004308: D3F30064 0D92754E
	buffer_load_dwordx4 a[124:127], v207, s[16:19], 0 offen offset:1024// 000000004310: E05C1400 80847CCF
	v_mfma_f32_16x16x32_fp8_fp8 v[104:107], a[94:95], v[58:59], v[104:107]// 000000004318: D3F30068 0DA2755E
	s_load_dword s59, s[42:43], s68                            // 000000004320: C0000ED5 00000044
	s_addk_i32 s64, 0x100                                      // 000000004328: B7400100
	s_cmp_lt_i32 s64, s63                                      // 00000000432C: BF043F40
	s_cbranch_scc0 label_23E7                                  // 000000004330: BF841D1A
	s_waitcnt vmcnt(10)                                        // 000000004334: BF8C0F7A
	v_mfma_f32_16x16x32_fp8_fp8 v[28:31], a[32:33], v[12:13], 0// 000000004338: D3F3001C 0A021920
	s_add_u32 s12, s86, s69                                    // 000000004340: 800C4556
	s_addc_u32 s13, s87, 0                                     // 000000004344: 820D8057
	v_mfma_f32_16x16x32_fp8_fp8 v[28:31], a[34:35], v[14:15], v[28:31]// 000000004348: D3F3001C 0C721D22
	s_add_u32 s16, s88, s70                                    // 000000004350: 80104658
	s_addc_u32 s17, s89, 0                                     // 000000004354: 82118059
	v_mfma_f32_16x16x32_fp8_fp8 v[28:31], a[36:37], v[16:17], v[28:31]// 000000004358: D3F3001C 0C722124
	buffer_load_dwordx4 a[0:3], v202, s[12:15], 0 offen        // 000000004360: E05C1000 808300CA
	v_mfma_f32_16x16x32_fp8_fp8 v[28:31], a[38:39], v[18:19], v[28:31]// 000000004368: D3F3001C 0C722526
	s_add_u32 s20, s90, s71                                    // 000000004370: 8014475A
	s_addc_u32 s21, s91, 0                                     // 000000004374: 8215805B
	v_mfma_f32_16x16x32_fp8_fp8 v[32:35], a[40:41], v[12:13], 0// 000000004378: D3F30020 0A021928
	s_add_u32 s24, s92, s71                                    // 000000004380: 8018475C
	s_addc_u32 s25, s93, 0                                     // 000000004384: 8219805D
	v_mfma_f32_16x16x32_fp8_fp8 v[32:35], a[42:43], v[14:15], v[32:35]// 000000004388: D3F30020 0C821D2A
	s_add_u32 s69, s69, 0x1000                                 // 000000004390: 8045FF45 00001000
	s_add_u32 s70, s70, 0x8000                                 // 000000004398: 8046FF46 00008000
	v_mfma_f32_16x16x32_fp8_fp8 v[32:35], a[44:45], v[16:17], v[32:35]// 0000000043A0: D3F30020 0C82212C
	buffer_load_dwordx4 a[4:7], v203, s[12:15], 0 offen        // 0000000043A8: E05C1000 808304CB
	v_mfma_f32_16x16x32_fp8_fp8 v[32:35], a[46:47], v[18:19], v[32:35]// 0000000043B0: D3F30020 0C82252E
	s_add_u32 s71, s71, 0x400                                  // 0000000043B8: 8047FF47 00000400
	v_mfma_f32_16x16x32_fp8_fp8 v[36:39], a[48:49], v[12:13], 0// 0000000043C0: D3F30024 0A021930
	v_mfma_f32_16x16x32_fp8_fp8 v[36:39], a[50:51], v[14:15], v[36:39]// 0000000043C8: D3F30024 0C921D32
	v_mfma_f32_16x16x32_fp8_fp8 v[36:39], a[52:53], v[16:17], v[36:39]// 0000000043D0: D3F30024 0C922134
	buffer_load_dwordx4 a[8:11], v202, s[12:15], 0 offen offset:1024// 0000000043D8: E05C1400 808308CA
	v_mfma_f32_16x16x32_fp8_fp8 v[36:39], a[54:55], v[18:19], v[36:39]// 0000000043E0: D3F30024 0C922536
	v_mfma_f32_16x16x32_fp8_fp8 v[40:43], a[56:57], v[12:13], 0// 0000000043E8: D3F30028 0A021938
	v_mfma_f32_16x16x32_fp8_fp8 v[40:43], a[58:59], v[14:15], v[40:43]// 0000000043F0: D3F30028 0CA21D3A
	v_mfma_f32_16x16x32_fp8_fp8 v[40:43], a[60:61], v[16:17], v[40:43]// 0000000043F8: D3F30028 0CA2213C
	buffer_load_dwordx4 a[12:15], v203, s[12:15], 0 offen offset:1024// 000000004400: E05C1400 80830CCB
	v_mfma_f32_16x16x32_fp8_fp8 v[40:43], a[62:63], v[18:19], v[40:43]// 000000004408: D3F30028 0CA2253E
	v_mfma_f32_16x16x32_fp8_fp8 v[44:47], a[32:33], v[20:21], 0// 000000004410: D3F3002C 0A022920
	v_mfma_f32_16x16x32_fp8_fp8 v[44:47], a[34:35], v[22:23], v[44:47]// 000000004418: D3F3002C 0CB22D22
	v_mfma_f32_16x16x32_fp8_fp8 v[44:47], a[36:37], v[24:25], v[44:47]// 000000004420: D3F3002C 0CB23124
	buffer_load_dwordx4 a[16:19], v202, s[12:15], 0 offen offset:2048// 000000004428: E05C1800 808310CA
	v_mfma_f32_16x16x32_fp8_fp8 v[44:47], a[38:39], v[26:27], v[44:47]// 000000004430: D3F3002C 0CB23526
	v_mfma_f32_16x16x32_fp8_fp8 v[48:51], a[40:41], v[20:21], 0// 000000004438: D3F30030 0A022928
	v_mfma_f32_16x16x32_fp8_fp8 v[48:51], a[42:43], v[22:23], v[48:51]// 000000004440: D3F30030 0CC22D2A
	v_mfma_f32_16x16x32_fp8_fp8 v[48:51], a[44:45], v[24:25], v[48:51]// 000000004448: D3F30030 0CC2312C
	buffer_load_dwordx4 a[20:23], v203, s[12:15], 0 offen offset:2048// 000000004450: E05C1800 808314CB
	v_mfma_f32_16x16x32_fp8_fp8 v[48:51], a[46:47], v[26:27], v[48:51]// 000000004458: D3F30030 0CC2352E
	v_mfma_f32_16x16x32_fp8_fp8 v[52:55], a[48:49], v[20:21], 0// 000000004460: D3F30034 0A022930
	v_mfma_f32_16x16x32_fp8_fp8 v[52:55], a[50:51], v[22:23], v[52:55]// 000000004468: D3F30034 0CD22D32
	v_mfma_f32_16x16x32_fp8_fp8 v[52:55], a[52:53], v[24:25], v[52:55]// 000000004470: D3F30034 0CD23134
	buffer_load_dwordx4 a[24:27], v202, s[12:15], 0 offen offset:3072// 000000004478: E05C1C00 808318CA
	v_mfma_f32_16x16x32_fp8_fp8 v[52:55], a[54:55], v[26:27], v[52:55]// 000000004480: D3F30034 0CD23536
	v_mfma_f32_16x16x32_fp8_fp8 v[56:59], a[56:57], v[20:21], 0// 000000004488: D3F30038 0A022938
	v_mfma_f32_16x16x32_fp8_fp8 v[56:59], a[58:59], v[22:23], v[56:59]// 000000004490: D3F30038 0CE22D3A
	v_mfma_f32_16x16x32_fp8_fp8 v[56:59], a[60:61], v[24:25], v[56:59]// 000000004498: D3F30038 0CE2313C
	buffer_load_dwordx4 a[28:31], v203, s[12:15], 0 offen offset:3072// 0000000044A0: E05C1C00 80831CCB
	v_mfma_f32_16x16x32_fp8_fp8 v[56:59], a[62:63], v[26:27], v[56:59]// 0000000044A8: D3F30038 0CE2353E
	s_waitcnt vmcnt(16)                                        // 0000000044B0: BF8C4F70
	v_pk_mul_f32 v[28:29], v[124:125], v[28:29]                // 0000000044B4: D3B1401C 1802397C
	v_pk_mul_f32 v[30:31], v[124:125], v[30:31]                // 0000000044BC: D3B1401E 18023D7C
	v_mul_f32_dpp v28, v129, v28 row_newbcast:0 row_mask:0xf bank_mask:0xf// 0000000044C4: 0A3838FA FF015081
	v_mul_f32_dpp v29, v129, v29 row_newbcast:1 row_mask:0xf bank_mask:0xf// 0000000044CC: 0A3A3AFA FF015181
	v_mul_f32_dpp v30, v129, v30 row_newbcast:2 row_mask:0xf bank_mask:0xf// 0000000044D4: 0A3C3CFA FF015281
	v_mul_f32_dpp v31, v129, v31 row_newbcast:3 row_mask:0xf bank_mask:0xf// 0000000044DC: 0A3E3EFA FF015381
	v_pk_mul_f32 v[32:33], v[124:125], v[32:33]                // 0000000044E4: D3B14020 1802417C
	v_pk_mul_f32 v[34:35], v[124:125], v[34:35]                // 0000000044EC: D3B14022 1802457C
	v_mul_f32_dpp v32, v129, v32 row_newbcast:4 row_mask:0xf bank_mask:0xf// 0000000044F4: 0A4040FA FF015481
	v_mul_f32_dpp v33, v129, v33 row_newbcast:5 row_mask:0xf bank_mask:0xf// 0000000044FC: 0A4242FA FF015581
	v_mul_f32_dpp v34, v129, v34 row_newbcast:6 row_mask:0xf bank_mask:0xf// 000000004504: 0A4444FA FF015681
	v_mul_f32_dpp v35, v129, v35 row_newbcast:7 row_mask:0xf bank_mask:0xf// 00000000450C: 0A4646FA FF015781
	v_pk_mul_f32 v[36:37], v[124:125], v[36:37]                // 000000004514: D3B14024 1802497C
	v_pk_mul_f32 v[38:39], v[124:125], v[38:39]                // 00000000451C: D3B14026 18024D7C
	v_mul_f32_dpp v36, v129, v36 row_newbcast:8 row_mask:0xf bank_mask:0xf// 000000004524: 0A4848FA FF015881
	v_mul_f32_dpp v37, v129, v37 row_newbcast:9 row_mask:0xf bank_mask:0xf// 00000000452C: 0A4A4AFA FF015981
	v_mul_f32_dpp v38, v129, v38 row_newbcast:10 row_mask:0xf bank_mask:0xf// 000000004534: 0A4C4CFA FF015A81
	v_mul_f32_dpp v39, v129, v39 row_newbcast:11 row_mask:0xf bank_mask:0xf// 00000000453C: 0A4E4EFA FF015B81
	v_pk_mul_f32 v[40:41], v[124:125], v[40:41]                // 000000004544: D3B14028 1802517C
	v_pk_mul_f32 v[42:43], v[124:125], v[42:43]                // 00000000454C: D3B1402A 1802557C
	v_mul_f32_dpp v40, v129, v40 row_newbcast:12 row_mask:0xf bank_mask:0xf// 000000004554: 0A5050FA FF015C81
	v_mul_f32_dpp v41, v129, v41 row_newbcast:13 row_mask:0xf bank_mask:0xf// 00000000455C: 0A5252FA FF015D81
	v_mul_f32_dpp v42, v129, v42 row_newbcast:14 row_mask:0xf bank_mask:0xf// 000000004564: 0A5454FA FF015E81
	v_mul_f32_dpp v43, v129, v43 row_newbcast:15 row_mask:0xf bank_mask:0xf// 00000000456C: 0A5656FA FF015F81
	v_pk_mul_f32 v[44:45], v[126:127], v[44:45]                // 000000004574: D3B1402C 1802597E
	v_pk_mul_f32 v[46:47], v[126:127], v[46:47]                // 00000000457C: D3B1402E 18025D7E
	v_mul_f32_dpp v44, v129, v44 row_newbcast:0 row_mask:0xf bank_mask:0xf// 000000004584: 0A5858FA FF015081
	v_mul_f32_dpp v45, v129, v45 row_newbcast:1 row_mask:0xf bank_mask:0xf// 00000000458C: 0A5A5AFA FF015181
	v_mul_f32_dpp v46, v129, v46 row_newbcast:2 row_mask:0xf bank_mask:0xf// 000000004594: 0A5C5CFA FF015281
	v_mul_f32_dpp v47, v129, v47 row_newbcast:3 row_mask:0xf bank_mask:0xf// 00000000459C: 0A5E5EFA FF015381
	v_pk_mul_f32 v[48:49], v[126:127], v[48:49]                // 0000000045A4: D3B14030 1802617E
	v_pk_mul_f32 v[50:51], v[126:127], v[50:51]                // 0000000045AC: D3B14032 1802657E
	v_mul_f32_dpp v48, v129, v48 row_newbcast:4 row_mask:0xf bank_mask:0xf// 0000000045B4: 0A6060FA FF015481
	v_mul_f32_dpp v49, v129, v49 row_newbcast:5 row_mask:0xf bank_mask:0xf// 0000000045BC: 0A6262FA FF015581
	v_mul_f32_dpp v50, v129, v50 row_newbcast:6 row_mask:0xf bank_mask:0xf// 0000000045C4: 0A6464FA FF015681
	v_mul_f32_dpp v51, v129, v51 row_newbcast:7 row_mask:0xf bank_mask:0xf// 0000000045CC: 0A6666FA FF015781
	v_pk_mul_f32 v[52:53], v[126:127], v[52:53]                // 0000000045D4: D3B14034 1802697E
	v_pk_mul_f32 v[54:55], v[126:127], v[54:55]                // 0000000045DC: D3B14036 18026D7E
	v_mul_f32_dpp v52, v129, v52 row_newbcast:8 row_mask:0xf bank_mask:0xf// 0000000045E4: 0A6868FA FF015881
	v_mul_f32_dpp v53, v129, v53 row_newbcast:9 row_mask:0xf bank_mask:0xf// 0000000045EC: 0A6A6AFA FF015981
	v_mul_f32_dpp v54, v129, v54 row_newbcast:10 row_mask:0xf bank_mask:0xf// 0000000045F4: 0A6C6CFA FF015A81
	v_mul_f32_dpp v55, v129, v55 row_newbcast:11 row_mask:0xf bank_mask:0xf// 0000000045FC: 0A6E6EFA FF015B81
	v_pk_mul_f32 v[56:57], v[126:127], v[56:57]                // 000000004604: D3B14038 1802717E
	v_pk_mul_f32 v[58:59], v[126:127], v[58:59]                // 00000000460C: D3B1403A 1802757E
	v_mul_f32_dpp v56, v129, v56 row_newbcast:12 row_mask:0xf bank_mask:0xf// 000000004614: 0A7070FA FF015C81
	v_mul_f32_dpp v57, v129, v57 row_newbcast:13 row_mask:0xf bank_mask:0xf// 00000000461C: 0A7272FA FF015D81
	v_mul_f32_dpp v58, v129, v58 row_newbcast:14 row_mask:0xf bank_mask:0xf// 000000004624: 0A7474FA FF015E81
	v_mul_f32_dpp v59, v129, v59 row_newbcast:15 row_mask:0xf bank_mask:0xf// 00000000462C: 0A7676FA FF015F81
	v_mov_b32_e32 v150, v28                                    // 000000004634: 7F2C031C
	v_max3_f32 v150, v28, v29, v150                            // 000000004638: D1D30096 065A3B1C
	v_max3_f32 v150, v30, v31, v150                            // 000000004640: D1D30096 065A3F1E
	v_max3_f32 v150, v32, v33, v150                            // 000000004648: D1D30096 065A4320
	v_max3_f32 v150, v34, v35, v150                            // 000000004650: D1D30096 065A4722
	v_max3_f32 v150, v36, v37, v150                            // 000000004658: D1D30096 065A4B24
	v_max3_f32 v150, v38, v39, v150                            // 000000004660: D1D30096 065A4F26
	v_max3_f32 v150, v40, v41, v150                            // 000000004668: D1D30096 065A5328
	v_max3_f32 v150, v42, v43, v150                            // 000000004670: D1D30096 065A572A
	v_mov_b32_e32 v151, v44                                    // 000000004678: 7F2E032C
	v_max3_f32 v151, v44, v45, v151                            // 00000000467C: D1D30097 065E5B2C
	v_max3_f32 v151, v46, v47, v151                            // 000000004684: D1D30097 065E5F2E
	v_max3_f32 v151, v48, v49, v151                            // 00000000468C: D1D30097 065E6330
	v_max3_f32 v151, v50, v51, v151                            // 000000004694: D1D30097 065E6732
	v_max3_f32 v151, v52, v53, v151                            // 00000000469C: D1D30097 065E6B34
	v_max3_f32 v151, v54, v55, v151                            // 0000000046A4: D1D30097 065E6F36
	v_max3_f32 v151, v56, v57, v151                            // 0000000046AC: D1D30097 065E7338
	v_max3_f32 v151, v58, v59, v151                            // 0000000046B4: D1D30097 065E773A
	ds_write_b64 v220, v[150:151]                              // 0000000046BC: D89A0000 000096DC
	v_pk_mul_f32 v[108:109], v[142:143], v[108:109]            // 0000000046C4: D3B1406C 1802D98E
	v_pk_mul_f32 v[110:111], v[142:143], v[110:111]            // 0000000046CC: D3B1406E 1802DD8E
	v_pk_mul_f32 v[112:113], v[142:143], v[112:113]            // 0000000046D4: D3B14070 1802E18E
	v_pk_mul_f32 v[114:115], v[142:143], v[114:115]            // 0000000046DC: D3B14072 1802E58E
	v_pk_mul_f32 v[116:117], v[144:145], v[116:117]            // 0000000046E4: D3B14074 1802E990
	v_pk_mul_f32 v[118:119], v[144:145], v[118:119]            // 0000000046EC: D3B14076 1802ED90
	v_pk_mul_f32 v[120:121], v[144:145], v[120:121]            // 0000000046F4: D3B14078 1802F190
	v_pk_mul_f32 v[122:123], v[144:145], v[122:123]            // 0000000046FC: D3B1407A 1802F590
	s_waitcnt lgkmcnt(0)                                       // 000000004704: BF8CC07F
	s_barrier                                                  // 000000004708: BF8A0000
	ds_read_b64 v[154:155], v221                               // 00000000470C: D8EC0000 9A0000DD
	ds_read_b64 v[156:157], v221 offset:128                    // 000000004714: D8EC0080 9C0000DD
	ds_read_b64 v[158:159], v221 offset:256                    // 00000000471C: D8EC0100 9E0000DD
	ds_read_b64 v[160:161], v221 offset:384                    // 000000004724: D8EC0180 A00000DD
	ds_read_b64 v[162:163], v221 offset:512                    // 00000000472C: D8EC0200 A20000DD
	ds_read_b64 v[164:165], v221 offset:640                    // 000000004734: D8EC0280 A40000DD
	ds_read_b64 v[166:167], v221 offset:768                    // 00000000473C: D8EC0300 A60000DD
	ds_read_b64 v[168:169], v221 offset:896                    // 000000004744: D8EC0380 A80000DD
	ds_read_b64 v[170:171], v221 offset:1024                   // 00000000474C: D8EC0400 AA0000DD
	ds_read_b64 v[172:173], v221 offset:1152                   // 000000004754: D8EC0480 AC0000DD
	ds_read_b64 v[174:175], v221 offset:1280                   // 00000000475C: D8EC0500 AE0000DD
	ds_read_b64 v[176:177], v221 offset:1408                   // 000000004764: D8EC0580 B00000DD
	ds_read_b64 v[178:179], v221 offset:1536                   // 00000000476C: D8EC0600 B20000DD
	ds_read_b64 v[180:181], v221 offset:1664                   // 000000004774: D8EC0680 B40000DD
	ds_read_b64 v[182:183], v221 offset:1792                   // 00000000477C: D8EC0700 B60000DD
	ds_read_b64 v[184:185], v221 offset:1920                   // 000000004784: D8EC0780 B80000DD
	v_pk_mul_f32 v[92:93], v[132:133], v[92:93]                // 00000000478C: D3B1405C 1802B984
	v_pk_mul_f32 v[94:95], v[132:133], v[94:95]                // 000000004794: D3B1405E 1802BD84
	v_pk_mul_f32 v[96:97], v[132:133], v[96:97]                // 00000000479C: D3B14060 1802C184
	v_pk_mul_f32 v[98:99], v[132:133], v[98:99]                // 0000000047A4: D3B14062 1802C584
	v_pk_mul_f32 v[100:101], v[134:135], v[100:101]            // 0000000047AC: D3B14064 1802C986
	v_pk_mul_f32 v[102:103], v[134:135], v[102:103]            // 0000000047B4: D3B14066 1802CD86
	v_pk_mul_f32 v[104:105], v[134:135], v[104:105]            // 0000000047BC: D3B14068 1802D186
	v_pk_mul_f32 v[106:107], v[134:135], v[106:107]            // 0000000047C4: D3B1406A 1802D586
	s_waitcnt lgkmcnt(0)                                       // 0000000047CC: BF8CC07F
	v_max3_f32 v150, v154, v156, v150                          // 0000000047D0: D1D30096 065B399A
	v_max3_f32 v151, v155, v157, v151                          // 0000000047D8: D1D30097 065F3B9B
	v_max3_f32 v150, v158, v160, v150                          // 0000000047E0: D1D30096 065B419E
	v_max3_f32 v151, v159, v161, v151                          // 0000000047E8: D1D30097 065F439F
	v_max3_f32 v150, v162, v164, v150                          // 0000000047F0: D1D30096 065B49A2
	v_max3_f32 v151, v163, v165, v151                          // 0000000047F8: D1D30097 065F4BA3
	v_max3_f32 v150, v166, v168, v150                          // 000000004800: D1D30096 065B51A6
	v_max3_f32 v151, v167, v169, v151                          // 000000004808: D1D30097 065F53A7
	v_max3_f32 v150, v170, v172, v150                          // 000000004810: D1D30096 065B59AA
	v_max3_f32 v151, v171, v173, v151                          // 000000004818: D1D30097 065F5BAB
	v_max3_f32 v150, v174, v176, v150                          // 000000004820: D1D30096 065B61AE
	v_max3_f32 v151, v175, v177, v151                          // 000000004828: D1D30097 065F63AF
	v_max3_f32 v150, v178, v180, v150                          // 000000004830: D1D30096 065B69B2
	v_max3_f32 v151, v179, v181, v151                          // 000000004838: D1D30097 065F6BB3
	v_max3_f32 v150, v182, v184, v150                          // 000000004840: D1D30096 065B71B6
	v_max3_f32 v151, v183, v185, v151                          // 000000004848: D1D30097 065F73B7
	v_max_f32_e32 v140, v150, v138                             // 000000004850: 17191596
	v_mul_f32_e64 v186, -s46, v140                             // 000000004854: D10500BA 2003182E
	v_mov_b32_e32 v187, v186                                   // 00000000485C: 7F7603BA
	v_pk_fma_f32 v[28:29], v[28:29], s[46:47], v[186:187]      // 000000004860: D3B0401C 1EE85D1C
	v_pk_fma_f32 v[30:31], v[30:31], s[46:47], v[186:187]      // 000000004868: D3B0401E 1EE85D1E
	v_exp_f32_e32 v28, v28                                     // 000000004870: 7E38411C
	v_exp_f32_e32 v29, v29                                     // 000000004874: 7E3A411D
	v_exp_f32_e32 v30, v30                                     // 000000004878: 7E3C411E
	v_exp_f32_e32 v31, v31                                     // 00000000487C: 7E3E411F
	v_pk_fma_f32 v[32:33], v[32:33], s[46:47], v[186:187]      // 000000004880: D3B04020 1EE85D20
	v_pk_fma_f32 v[34:35], v[34:35], s[46:47], v[186:187]      // 000000004888: D3B04022 1EE85D22
	v_exp_f32_e32 v32, v32                                     // 000000004890: 7E404120
	v_exp_f32_e32 v33, v33                                     // 000000004894: 7E424121
	v_exp_f32_e32 v34, v34                                     // 000000004898: 7E444122
	v_exp_f32_e32 v35, v35                                     // 00000000489C: 7E464123
	v_pk_fma_f32 v[36:37], v[36:37], s[46:47], v[186:187]      // 0000000048A0: D3B04024 1EE85D24
	v_pk_fma_f32 v[38:39], v[38:39], s[46:47], v[186:187]      // 0000000048A8: D3B04026 1EE85D26
	v_exp_f32_e32 v36, v36                                     // 0000000048B0: 7E484124
	v_exp_f32_e32 v37, v37                                     // 0000000048B4: 7E4A4125
	v_exp_f32_e32 v38, v38                                     // 0000000048B8: 7E4C4126
	v_exp_f32_e32 v39, v39                                     // 0000000048BC: 7E4E4127
	v_pk_fma_f32 v[40:41], v[40:41], s[46:47], v[186:187]      // 0000000048C0: D3B04028 1EE85D28
	v_pk_fma_f32 v[42:43], v[42:43], s[46:47], v[186:187]      // 0000000048C8: D3B0402A 1EE85D2A
	v_exp_f32_e32 v40, v40                                     // 0000000048D0: 7E504128
	v_exp_f32_e32 v41, v41                                     // 0000000048D4: 7E524129
	v_exp_f32_e32 v42, v42                                     // 0000000048D8: 7E54412A
	v_exp_f32_e32 v43, v43                                     // 0000000048DC: 7E56412B
	v_max_f32_e32 v141, v151, v139                             // 0000000048E0: 171B1797
	v_mul_f32_e64 v186, -s46, v141                             // 0000000048E4: D10500BA 20031A2E
	v_mov_b32_e32 v187, v186                                   // 0000000048EC: 7F7603BA
	v_pk_fma_f32 v[44:45], v[44:45], s[46:47], v[186:187]      // 0000000048F0: D3B0402C 1EE85D2C
	v_pk_fma_f32 v[46:47], v[46:47], s[46:47], v[186:187]      // 0000000048F8: D3B0402E 1EE85D2E
	v_exp_f32_e32 v44, v44                                     // 000000004900: 7E58412C
	v_exp_f32_e32 v45, v45                                     // 000000004904: 7E5A412D
	v_exp_f32_e32 v46, v46                                     // 000000004908: 7E5C412E
	v_exp_f32_e32 v47, v47                                     // 00000000490C: 7E5E412F
	v_pk_fma_f32 v[48:49], v[48:49], s[46:47], v[186:187]      // 000000004910: D3B04030 1EE85D30
	v_pk_fma_f32 v[50:51], v[50:51], s[46:47], v[186:187]      // 000000004918: D3B04032 1EE85D32
	v_exp_f32_e32 v48, v48                                     // 000000004920: 7E604130
	v_exp_f32_e32 v49, v49                                     // 000000004924: 7E624131
	v_exp_f32_e32 v50, v50                                     // 000000004928: 7E644132
	v_exp_f32_e32 v51, v51                                     // 00000000492C: 7E664133
	v_pk_fma_f32 v[52:53], v[52:53], s[46:47], v[186:187]      // 000000004930: D3B04034 1EE85D34
	v_pk_fma_f32 v[54:55], v[54:55], s[46:47], v[186:187]      // 000000004938: D3B04036 1EE85D36
	v_exp_f32_e32 v52, v52                                     // 000000004940: 7E684134
	v_exp_f32_e32 v53, v53                                     // 000000004944: 7E6A4135
	v_exp_f32_e32 v54, v54                                     // 000000004948: 7E6C4136
	v_exp_f32_e32 v55, v55                                     // 00000000494C: 7E6E4137
	v_pk_fma_f32 v[56:57], v[56:57], s[46:47], v[186:187]      // 000000004950: D3B04038 1EE85D38
	v_pk_fma_f32 v[58:59], v[58:59], s[46:47], v[186:187]      // 000000004958: D3B0403A 1EE85D3A
	v_exp_f32_e32 v56, v56                                     // 000000004960: 7E704138
	v_exp_f32_e32 v57, v57                                     // 000000004964: 7E724139
	v_exp_f32_e32 v58, v58                                     // 000000004968: 7E74413A
	v_exp_f32_e32 v59, v59                                     // 00000000496C: 7E76413B
	v_mul_f32_dpp v60, v131, v28 row_newbcast:0 row_mask:0xf bank_mask:0xf// 000000004970: 0A7838FA FF015083
	v_mul_f32_dpp v61, v131, v29 row_newbcast:1 row_mask:0xf bank_mask:0xf// 000000004978: 0A7A3AFA FF015183
	v_mul_f32_dpp v62, v131, v30 row_newbcast:2 row_mask:0xf bank_mask:0xf// 000000004980: 0A7C3CFA FF015283
	v_mul_f32_dpp v63, v131, v31 row_newbcast:3 row_mask:0xf bank_mask:0xf// 000000004988: 0A7E3EFA FF015383
	v_mul_f32_dpp v64, v131, v32 row_newbcast:4 row_mask:0xf bank_mask:0xf// 000000004990: 0A8040FA FF015483
	v_mul_f32_dpp v65, v131, v33 row_newbcast:5 row_mask:0xf bank_mask:0xf// 000000004998: 0A8242FA FF015583
	v_mul_f32_dpp v66, v131, v34 row_newbcast:6 row_mask:0xf bank_mask:0xf// 0000000049A0: 0A8444FA FF015683
	v_mul_f32_dpp v67, v131, v35 row_newbcast:7 row_mask:0xf bank_mask:0xf// 0000000049A8: 0A8646FA FF015783
	v_mul_f32_dpp v68, v131, v36 row_newbcast:8 row_mask:0xf bank_mask:0xf// 0000000049B0: 0A8848FA FF015883
	v_mul_f32_dpp v69, v131, v37 row_newbcast:9 row_mask:0xf bank_mask:0xf// 0000000049B8: 0A8A4AFA FF015983
	v_mul_f32_dpp v70, v131, v38 row_newbcast:10 row_mask:0xf bank_mask:0xf// 0000000049C0: 0A8C4CFA FF015A83
	v_mul_f32_dpp v71, v131, v39 row_newbcast:11 row_mask:0xf bank_mask:0xf// 0000000049C8: 0A8E4EFA FF015B83
	v_mul_f32_dpp v72, v131, v40 row_newbcast:12 row_mask:0xf bank_mask:0xf// 0000000049D0: 0A9050FA FF015C83
	v_mul_f32_dpp v73, v131, v41 row_newbcast:13 row_mask:0xf bank_mask:0xf// 0000000049D8: 0A9252FA FF015D83
	v_mul_f32_dpp v74, v131, v42 row_newbcast:14 row_mask:0xf bank_mask:0xf// 0000000049E0: 0A9454FA FF015E83
	v_mul_f32_dpp v75, v131, v43 row_newbcast:15 row_mask:0xf bank_mask:0xf// 0000000049E8: 0A9656FA FF015F83
	v_mul_f32_dpp v76, v131, v44 row_newbcast:0 row_mask:0xf bank_mask:0xf// 0000000049F0: 0A9858FA FF015083
	v_mul_f32_dpp v77, v131, v45 row_newbcast:1 row_mask:0xf bank_mask:0xf// 0000000049F8: 0A9A5AFA FF015183
	v_mul_f32_dpp v78, v131, v46 row_newbcast:2 row_mask:0xf bank_mask:0xf// 000000004A00: 0A9C5CFA FF015283
	v_mul_f32_dpp v79, v131, v47 row_newbcast:3 row_mask:0xf bank_mask:0xf// 000000004A08: 0A9E5EFA FF015383
	v_mul_f32_dpp v80, v131, v48 row_newbcast:4 row_mask:0xf bank_mask:0xf// 000000004A10: 0AA060FA FF015483
	v_mul_f32_dpp v81, v131, v49 row_newbcast:5 row_mask:0xf bank_mask:0xf// 000000004A18: 0AA262FA FF015583
	v_mul_f32_dpp v82, v131, v50 row_newbcast:6 row_mask:0xf bank_mask:0xf// 000000004A20: 0AA464FA FF015683
	v_mul_f32_dpp v83, v131, v51 row_newbcast:7 row_mask:0xf bank_mask:0xf// 000000004A28: 0AA666FA FF015783
	v_mul_f32_dpp v84, v131, v52 row_newbcast:8 row_mask:0xf bank_mask:0xf// 000000004A30: 0AA868FA FF015883
	v_mul_f32_dpp v85, v131, v53 row_newbcast:9 row_mask:0xf bank_mask:0xf// 000000004A38: 0AAA6AFA FF015983
	v_mul_f32_dpp v86, v131, v54 row_newbcast:10 row_mask:0xf bank_mask:0xf// 000000004A40: 0AAC6CFA FF015A83
	v_mul_f32_dpp v87, v131, v55 row_newbcast:11 row_mask:0xf bank_mask:0xf// 000000004A48: 0AAE6EFA FF015B83
	v_mul_f32_dpp v88, v131, v56 row_newbcast:12 row_mask:0xf bank_mask:0xf// 000000004A50: 0AB070FA FF015C83
	v_mul_f32_dpp v89, v131, v57 row_newbcast:13 row_mask:0xf bank_mask:0xf// 000000004A58: 0AB272FA FF015D83
	v_mul_f32_dpp v90, v131, v58 row_newbcast:14 row_mask:0xf bank_mask:0xf// 000000004A60: 0AB474FA FF015E83
	v_mul_f32_dpp v91, v131, v59 row_newbcast:15 row_mask:0xf bank_mask:0xf// 000000004A68: 0AB676FA FF015F83
	v_mov_b32_e32 v150, 0x358637bd                             // 000000004A70: 7F2C02FF 358637BD
	v_max3_f32 v150, |v60|, |v61|, v150                        // 000000004A78: D1D30396 065A7B3C
	v_max3_f32 v150, |v62|, |v63|, v150                        // 000000004A80: D1D30396 065A7F3E
	v_max3_f32 v150, |v64|, |v65|, v150                        // 000000004A88: D1D30396 065A8340
	v_max3_f32 v150, |v66|, |v67|, v150                        // 000000004A90: D1D30396 065A8742
	v_max3_f32 v150, |v68|, |v69|, v150                        // 000000004A98: D1D30396 065A8B44
	v_max3_f32 v150, |v70|, |v71|, v150                        // 000000004AA0: D1D30396 065A8F46
	v_max3_f32 v150, |v72|, |v73|, v150                        // 000000004AA8: D1D30396 065A9348
	v_max3_f32 v150, |v74|, |v75|, v150                        // 000000004AB0: D1D30396 065A974A
	v_mov_b32_e32 v151, 0x358637bd                             // 000000004AB8: 7F2E02FF 358637BD
	v_max3_f32 v151, |v76|, |v77|, v151                        // 000000004AC0: D1D30397 065E9B4C
	v_max3_f32 v151, |v78|, |v79|, v151                        // 000000004AC8: D1D30397 065E9F4E
	v_max3_f32 v151, |v80|, |v81|, v151                        // 000000004AD0: D1D30397 065EA350
	v_max3_f32 v151, |v82|, |v83|, v151                        // 000000004AD8: D1D30397 065EA752
	v_max3_f32 v151, |v84|, |v85|, v151                        // 000000004AE0: D1D30397 065EAB54
	v_max3_f32 v151, |v86|, |v87|, v151                        // 000000004AE8: D1D30397 065EAF56
	v_max3_f32 v151, |v88|, |v89|, v151                        // 000000004AF0: D1D30397 065EB358
	v_max3_f32 v151, |v90|, |v91|, v151                        // 000000004AF8: D1D30397 065EB75A
	ds_write_b64 v220, v[150:151] offset:2304                  // 000000004B00: D89A0900 000096DC
	buffer_load_dword v128, v208, s[20:23], 0 offen            // 000000004B08: E0501000 800580D0
	v_sub_f32_e32 v142, v138, v140                             // 000000004B10: 051D198A
	v_cmp_eq_u32_e64 s[98:99], v197, v138                      // 000000004B14: D0CA0062 000315C5
	v_cndmask_b32_e64 v142, v142, 0, s[98:99]                  // 000000004B1C: D100008E 0189018E
	v_mov_b32_e32 v138, v140                                   // 000000004B24: 7F14038C
	v_mul_f32_e32 v142, s46, v142                              // 000000004B28: 0B1D1C2E
	v_exp_f32_e32 v142, v142                                   // 000000004B2C: 7F1C418E
	v_sub_f32_e32 v144, v139, v141                             // 000000004B30: 05211B8B
	v_cmp_eq_u32_e64 s[98:99], v197, v139                      // 000000004B34: D0CA0062 000317C5
	v_cndmask_b32_e64 v144, v144, 0, s[98:99]                  // 000000004B3C: D1000090 01890190
	v_mov_b32_e32 v139, v141                                   // 000000004B44: 7F16038D
	v_mul_f32_e32 v144, s46, v144                              // 000000004B48: 0B21202E
	v_exp_f32_e32 v144, v144                                   // 000000004B4C: 7F204190
	v_mov_b32_e32 v143, v142                                   // 000000004B50: 7F1E038E
	v_mov_b32_e32 v145, v144                                   // 000000004B54: 7F220390
	buffer_load_dword v130, v209, s[24:27], 0 offen            // 000000004B58: E0501000 800682D1
	s_waitcnt lgkmcnt(0)                                       // 000000004B60: BF8CC07F
	s_barrier                                                  // 000000004B64: BF8A0000
	ds_read_b64 v[154:155], v221 offset:2304                   // 000000004B68: D8EC0900 9A0000DD
	ds_read_b64 v[156:157], v221 offset:2432                   // 000000004B70: D8EC0980 9C0000DD
	ds_read_b64 v[158:159], v221 offset:2560                   // 000000004B78: D8EC0A00 9E0000DD
	ds_read_b64 v[160:161], v221 offset:2688                   // 000000004B80: D8EC0A80 A00000DD
	ds_read_b64 v[162:163], v221 offset:2816                   // 000000004B88: D8EC0B00 A20000DD
	ds_read_b64 v[164:165], v221 offset:2944                   // 000000004B90: D8EC0B80 A40000DD
	ds_read_b64 v[166:167], v221 offset:3072                   // 000000004B98: D8EC0C00 A60000DD
	ds_read_b64 v[168:169], v221 offset:3200                   // 000000004BA0: D8EC0C80 A80000DD
	ds_read_b64 v[170:171], v221 offset:3328                   // 000000004BA8: D8EC0D00 AA0000DD
	ds_read_b64 v[172:173], v221 offset:3456                   // 000000004BB0: D8EC0D80 AC0000DD
	ds_read_b64 v[174:175], v221 offset:3584                   // 000000004BB8: D8EC0E00 AE0000DD
	ds_read_b64 v[176:177], v221 offset:3712                   // 000000004BC0: D8EC0E80 B00000DD
	ds_read_b64 v[178:179], v221 offset:3840                   // 000000004BC8: D8EC0F00 B20000DD
	ds_read_b64 v[180:181], v221 offset:3968                   // 000000004BD0: D8EC0F80 B40000DD
	ds_read_b64 v[182:183], v221 offset:4096                   // 000000004BD8: D8EC1000 B60000DD
	ds_read_b64 v[184:185], v221 offset:4224                   // 000000004BE0: D8EC1080 B80000DD
	v_mul_f32_e32 v146, v142, v146                             // 000000004BE8: 0B25258E
	v_mov_b32_e32 v147, 0                                      // 000000004BEC: 7F260280
	v_pk_add_f32 v[146:147], v[28:29], v[146:147]              // 000000004BF0: D3B24092 1803251C
	v_pk_add_f32 v[146:147], v[30:31], v[146:147]              // 000000004BF8: D3B24092 1803251E
	v_pk_add_f32 v[146:147], v[32:33], v[146:147]              // 000000004C00: D3B24092 18032520
	v_pk_add_f32 v[146:147], v[34:35], v[146:147]              // 000000004C08: D3B24092 18032522
	v_pk_add_f32 v[146:147], v[36:37], v[146:147]              // 000000004C10: D3B24092 18032524
	v_pk_add_f32 v[146:147], v[38:39], v[146:147]              // 000000004C18: D3B24092 18032526
	v_pk_add_f32 v[146:147], v[40:41], v[146:147]              // 000000004C20: D3B24092 18032528
	v_pk_add_f32 v[146:147], v[42:43], v[146:147]              // 000000004C28: D3B24092 1803252A
	v_add_f32_e32 v146, v147, v146                             // 000000004C30: 03252593
	v_mul_f32_e32 v148, v144, v148                             // 000000004C34: 0B292990
	v_mov_b32_e32 v149, 0                                      // 000000004C38: 7F2A0280
	v_pk_add_f32 v[148:149], v[44:45], v[148:149]              // 000000004C3C: D3B24094 1803292C
	v_pk_add_f32 v[148:149], v[46:47], v[148:149]              // 000000004C44: D3B24094 1803292E
	v_pk_add_f32 v[148:149], v[48:49], v[148:149]              // 000000004C4C: D3B24094 18032930
	v_pk_add_f32 v[148:149], v[50:51], v[148:149]              // 000000004C54: D3B24094 18032932
	v_pk_add_f32 v[148:149], v[52:53], v[148:149]              // 000000004C5C: D3B24094 18032934
	v_pk_add_f32 v[148:149], v[54:55], v[148:149]              // 000000004C64: D3B24094 18032936
	v_pk_add_f32 v[148:149], v[56:57], v[148:149]              // 000000004C6C: D3B24094 18032938
	v_pk_add_f32 v[148:149], v[58:59], v[148:149]              // 000000004C74: D3B24094 1803293A
	v_add_f32_e32 v148, v149, v148                             // 000000004C7C: 03292995
	s_waitcnt lgkmcnt(0)                                       // 000000004C80: BF8CC07F
	v_max3_f32 v150, v154, v156, v150                          // 000000004C84: D1D30096 065B399A
	v_max3_f32 v151, v155, v157, v151                          // 000000004C8C: D1D30097 065F3B9B
	v_max3_f32 v150, v158, v160, v150                          // 000000004C94: D1D30096 065B419E
	v_max3_f32 v151, v159, v161, v151                          // 000000004C9C: D1D30097 065F439F
	v_max3_f32 v150, v162, v164, v150                          // 000000004CA4: D1D30096 065B49A2
	v_max3_f32 v151, v163, v165, v151                          // 000000004CAC: D1D30097 065F4BA3
	v_max3_f32 v150, v166, v168, v150                          // 000000004CB4: D1D30096 065B51A6
	v_max3_f32 v151, v167, v169, v151                          // 000000004CBC: D1D30097 065F53A7
	v_max3_f32 v150, v170, v172, v150                          // 000000004CC4: D1D30096 065B59AA
	v_max3_f32 v151, v171, v173, v151                          // 000000004CCC: D1D30097 065F5BAB
	v_max3_f32 v150, v174, v176, v150                          // 000000004CD4: D1D30096 065B61AE
	v_max3_f32 v151, v175, v177, v151                          // 000000004CDC: D1D30097 065F63AF
	v_max3_f32 v150, v178, v180, v150                          // 000000004CE4: D1D30096 065B69B2
	v_max3_f32 v151, v179, v181, v151                          // 000000004CEC: D1D30097 065F6BB3
	v_max3_f32 v150, v182, v184, v150                          // 000000004CF4: D1D30096 065B71B6
	v_max3_f32 v151, v183, v185, v151                          // 000000004CFC: D1D30097 065F73B7
	v_rcp_f32_e32 v150, v150                                   // 000000004D04: 7F2C4596
	v_rcp_f32_e32 v151, v151                                   // 000000004D08: 7F2E4597
	v_mul_f32_e32 v150, 0x43700000, v150                       // 000000004D0C: 0B2D2CFF 43700000
	v_mul_f32_e32 v151, 0x43700000, v151                       // 000000004D14: 0B2F2EFF 43700000
	v_mov_b32_e32 v152, v151                                   // 000000004D1C: 7F300397
	v_mov_b32_e32 v153, v151                                   // 000000004D20: 7F320397
	v_mov_b32_e32 v151, v150                                   // 000000004D24: 7F2E0396
	v_pk_mul_f32 v[28:29], v[150:151], v[60:61]                // 000000004D28: D3B1401C 18027996
	v_pk_mul_f32 v[30:31], v[150:151], v[62:63]                // 000000004D30: D3B1401E 18027D96
	v_pk_mul_f32 v[32:33], v[150:151], v[64:65]                // 000000004D38: D3B14020 18028196
	v_pk_mul_f32 v[34:35], v[150:151], v[66:67]                // 000000004D40: D3B14022 18028596
	v_pk_mul_f32 v[36:37], v[150:151], v[68:69]                // 000000004D48: D3B14024 18028996
	v_pk_mul_f32 v[38:39], v[150:151], v[70:71]                // 000000004D50: D3B14026 18028D96
	v_pk_mul_f32 v[40:41], v[150:151], v[72:73]                // 000000004D58: D3B14028 18029196
	v_pk_mul_f32 v[42:43], v[150:151], v[74:75]                // 000000004D60: D3B1402A 18029596
	v_pk_mul_f32 v[44:45], v[152:153], v[76:77]                // 000000004D68: D3B1402C 18029998
	v_pk_mul_f32 v[46:47], v[152:153], v[78:79]                // 000000004D70: D3B1402E 18029D98
	v_pk_mul_f32 v[48:49], v[152:153], v[80:81]                // 000000004D78: D3B14030 1802A198
	v_pk_mul_f32 v[50:51], v[152:153], v[82:83]                // 000000004D80: D3B14032 1802A598
	v_pk_mul_f32 v[52:53], v[152:153], v[84:85]                // 000000004D88: D3B14034 1802A998
	v_pk_mul_f32 v[54:55], v[152:153], v[86:87]                // 000000004D90: D3B14036 1802AD98
	v_pk_mul_f32 v[56:57], v[152:153], v[88:89]                // 000000004D98: D3B14038 1802B198
	v_pk_mul_f32 v[58:59], v[152:153], v[90:91]                // 000000004DA0: D3B1403A 1802B598
	v_cvt_pk_fp8_f32 v28, v28, v29                             // 000000004DA8: D2A2001C 00023B1C
	v_cvt_pk_fp8_f32 v28, v30, v31 op_sel:[0,0,1]              // 000000004DB0: D2A2401C 00023F1E
	v_cvt_pk_fp8_f32 v29, v32, v33                             // 000000004DB8: D2A2001D 00024320
	v_cvt_pk_fp8_f32 v29, v34, v35 op_sel:[0,0,1]              // 000000004DC0: D2A2401D 00024722
	v_cvt_pk_fp8_f32 v30, v36, v37                             // 000000004DC8: D2A2001E 00024B24
	v_cvt_pk_fp8_f32 v30, v38, v39 op_sel:[0,0,1]              // 000000004DD0: D2A2401E 00024F26
	v_cvt_pk_fp8_f32 v31, v40, v41                             // 000000004DD8: D2A2001F 00025328
	v_cvt_pk_fp8_f32 v31, v42, v43 op_sel:[0,0,1]              // 000000004DE0: D2A2401F 0002572A
	v_cvt_pk_fp8_f32 v32, v44, v45                             // 000000004DE8: D2A20020 00025B2C
	v_cvt_pk_fp8_f32 v32, v46, v47 op_sel:[0,0,1]              // 000000004DF0: D2A24020 00025F2E
	v_cvt_pk_fp8_f32 v33, v48, v49                             // 000000004DF8: D2A20021 00026330
	v_cvt_pk_fp8_f32 v33, v50, v51 op_sel:[0,0,1]              // 000000004E00: D2A24021 00026732
	v_cvt_pk_fp8_f32 v34, v52, v53                             // 000000004E08: D2A20022 00026B34
	v_cvt_pk_fp8_f32 v34, v54, v55 op_sel:[0,0,1]              // 000000004E10: D2A24022 00026F36
	v_cvt_pk_fp8_f32 v35, v56, v57                             // 000000004E18: D2A20023 00027338
	v_cvt_pk_fp8_f32 v35, v58, v59 op_sel:[0,0,1]              // 000000004E20: D2A24023 0002773A
	ds_write_b32 v222, v28 offset:4608                         // 000000004E28: D81A1200 00001CDE
	ds_write_b32 v222, v29 offset:5632                         // 000000004E30: D81A1600 00001DDE
	ds_write_b32 v222, v30 offset:6656                         // 000000004E38: D81A1A00 00001EDE
	ds_write_b32 v222, v31 offset:7680                         // 000000004E40: D81A1E00 00001FDE
	ds_write_b32 v222, v32 offset:8704                         // 000000004E48: D81A2200 000020DE
	ds_write_b32 v222, v33 offset:9728                         // 000000004E50: D81A2600 000021DE
	ds_write_b32 v222, v34 offset:10752                        // 000000004E58: D81A2A00 000022DE
	ds_write_b32 v222, v35 offset:11776                        // 000000004E60: D81A2E00 000023DE
	v_rcp_f32_e32 v132, v150                                   // 000000004E68: 7F084596
	v_rcp_f32_e32 v134, v152                                   // 000000004E6C: 7F0C4598
	v_mov_b32_e32 v133, v132                                   // 000000004E70: 7F0A0384
	v_mov_b32_e32 v135, v134                                   // 000000004E74: 7F0E0386
	v_pk_add_f32 v[108:109], v[108:109], v[92:93]              // 000000004E78: D3B2406C 1802B96C
	v_pk_add_f32 v[110:111], v[110:111], v[94:95]              // 000000004E80: D3B2406E 1802BD6E
	v_pk_add_f32 v[112:113], v[112:113], v[96:97]              // 000000004E88: D3B24070 1802C170
	v_pk_add_f32 v[114:115], v[114:115], v[98:99]              // 000000004E90: D3B24072 1802C572
	v_pk_add_f32 v[116:117], v[116:117], v[100:101]            // 000000004E98: D3B24074 1802C974
	v_pk_add_f32 v[118:119], v[118:119], v[102:103]            // 000000004EA0: D3B24076 1802CD76
	v_pk_add_f32 v[120:121], v[120:121], v[104:105]            // 000000004EA8: D3B24078 1802D178
	v_pk_add_f32 v[122:123], v[122:123], v[106:107]            // 000000004EB0: D3B2407A 1802D57A
	s_waitcnt lgkmcnt(0)                                       // 000000004EB8: BF8CC07F
	s_barrier                                                  // 000000004EBC: BF8A0000
	ds_read_b128 v[28:31], v223 offset:4608                    // 000000004EC0: D9FE1200 1C0000DF
	ds_read_b128 v[32:35], v223 offset:5632                    // 000000004EC8: D9FE1600 200000DF
	ds_read_b128 v[36:39], v223 offset:6656                    // 000000004ED0: D9FE1A00 240000DF
	ds_read_b128 v[40:43], v223 offset:7680                    // 000000004ED8: D9FE1E00 280000DF
	ds_read_b128 v[44:47], v223 offset:8704                    // 000000004EE0: D9FE2200 2C0000DF
	ds_read_b128 v[48:51], v223 offset:9728                    // 000000004EE8: D9FE2600 300000DF
	ds_read_b128 v[52:55], v223 offset:10752                   // 000000004EF0: D9FE2A00 340000DF
	ds_read_b128 v[56:59], v223 offset:11776                   // 000000004EF8: D9FE2E00 380000DF
	s_waitcnt vmcnt(10)                                        // 000000004F00: BF8C0F7A
	s_waitcnt lgkmcnt(7)                                       // 000000004F04: BF8CC77F
	v_mfma_f32_16x16x32_fp8_fp8 v[92:95], a[96:97], v[28:29], 0// 000000004F08: D3F3005C 0A023960
	v_mfma_f32_16x16x32_fp8_fp8 v[96:99], a[112:113], v[28:29], 0// 000000004F10: D3F30060 0A023970
	v_mfma_f32_16x16x32_fp8_fp8 v[92:95], a[98:99], v[30:31], v[92:95]// 000000004F18: D3F3005C 0D723D62
	buffer_load_dwordx4 a[64:67], v204, s[16:19], 0 offen      // 000000004F20: E05C1000 808440CC
	v_mfma_f32_16x16x32_fp8_fp8 v[96:99], a[114:115], v[30:31], v[96:99]// 000000004F28: D3F30060 0D823D72
	s_waitcnt lgkmcnt(6)                                       // 000000004F30: BF8CC67F
	v_mfma_f32_16x16x32_fp8_fp8 v[92:95], a[100:101], v[32:33], v[92:95]// 000000004F34: D3F3005C 0D724164
	v_mfma_f32_16x16x32_fp8_fp8 v[96:99], a[116:117], v[32:33], v[96:99]// 000000004F3C: D3F30060 0D824174
	v_mfma_f32_16x16x32_fp8_fp8 v[92:95], a[102:103], v[34:35], v[92:95]// 000000004F44: D3F3005C 0D724566
	buffer_load_dwordx4 a[68:71], v205, s[16:19], 0 offen      // 000000004F4C: E05C1000 808444CD
	v_mfma_f32_16x16x32_fp8_fp8 v[96:99], a[118:119], v[34:35], v[96:99]// 000000004F54: D3F30060 0D824576
	s_waitcnt lgkmcnt(5)                                       // 000000004F5C: BF8CC57F
	v_mfma_f32_16x16x32_fp8_fp8 v[92:95], a[104:105], v[36:37], v[92:95]// 000000004F60: D3F3005C 0D724968
	v_mfma_f32_16x16x32_fp8_fp8 v[96:99], a[120:121], v[36:37], v[96:99]// 000000004F68: D3F30060 0D824978
	v_mfma_f32_16x16x32_fp8_fp8 v[92:95], a[106:107], v[38:39], v[92:95]// 000000004F70: D3F3005C 0D724D6A
	buffer_load_dwordx4 a[72:75], v206, s[16:19], 0 offen      // 000000004F78: E05C1000 808448CE
	v_mfma_f32_16x16x32_fp8_fp8 v[96:99], a[122:123], v[38:39], v[96:99]// 000000004F80: D3F30060 0D824D7A
	s_waitcnt lgkmcnt(4)                                       // 000000004F88: BF8CC47F
	v_mfma_f32_16x16x32_fp8_fp8 v[92:95], a[108:109], v[40:41], v[92:95]// 000000004F8C: D3F3005C 0D72516C
	v_mfma_f32_16x16x32_fp8_fp8 v[96:99], a[124:125], v[40:41], v[96:99]// 000000004F94: D3F30060 0D82517C
	v_mfma_f32_16x16x32_fp8_fp8 v[92:95], a[110:111], v[42:43], v[92:95]// 000000004F9C: D3F3005C 0D72556E
	buffer_load_dwordx4 a[76:79], v207, s[16:19], 0 offen      // 000000004FA4: E05C1000 80844CCF
	v_mfma_f32_16x16x32_fp8_fp8 v[96:99], a[126:127], v[42:43], v[96:99]// 000000004FAC: D3F30060 0D82557E
	s_waitcnt lgkmcnt(3)                                       // 000000004FB4: BF8CC37F
	v_mfma_f32_16x16x32_fp8_fp8 v[100:103], a[96:97], v[44:45], 0// 000000004FB8: D3F30064 0A025960
	v_mfma_f32_16x16x32_fp8_fp8 v[104:107], a[112:113], v[44:45], 0// 000000004FC0: D3F30068 0A025970
	v_mfma_f32_16x16x32_fp8_fp8 v[100:103], a[98:99], v[46:47], v[100:103]// 000000004FC8: D3F30064 0D925D62
	buffer_load_dwordx4 a[80:83], v204, s[16:19], 0 offen offset:1024// 000000004FD0: E05C1400 808450CC
	v_mfma_f32_16x16x32_fp8_fp8 v[104:107], a[114:115], v[46:47], v[104:107]// 000000004FD8: D3F30068 0DA25D72
	s_waitcnt lgkmcnt(2)                                       // 000000004FE0: BF8CC27F
	v_mfma_f32_16x16x32_fp8_fp8 v[100:103], a[100:101], v[48:49], v[100:103]// 000000004FE4: D3F30064 0D926164
	v_mfma_f32_16x16x32_fp8_fp8 v[104:107], a[116:117], v[48:49], v[104:107]// 000000004FEC: D3F30068 0DA26174
	v_mfma_f32_16x16x32_fp8_fp8 v[100:103], a[102:103], v[50:51], v[100:103]// 000000004FF4: D3F30064 0D926566
	buffer_load_dwordx4 a[84:87], v205, s[16:19], 0 offen offset:1024// 000000004FFC: E05C1400 808454CD
	v_mfma_f32_16x16x32_fp8_fp8 v[104:107], a[118:119], v[50:51], v[104:107]// 000000005004: D3F30068 0DA26576
	s_waitcnt lgkmcnt(1)                                       // 00000000500C: BF8CC17F
	v_mfma_f32_16x16x32_fp8_fp8 v[100:103], a[104:105], v[52:53], v[100:103]// 000000005010: D3F30064 0D926968
	v_mfma_f32_16x16x32_fp8_fp8 v[104:107], a[120:121], v[52:53], v[104:107]// 000000005018: D3F30068 0DA26978
	v_mfma_f32_16x16x32_fp8_fp8 v[100:103], a[106:107], v[54:55], v[100:103]// 000000005020: D3F30064 0D926D6A
	buffer_load_dwordx4 a[88:91], v206, s[16:19], 0 offen offset:1024// 000000005028: E05C1400 808458CE
	v_mfma_f32_16x16x32_fp8_fp8 v[104:107], a[122:123], v[54:55], v[104:107]// 000000005030: D3F30068 0DA26D7A
	s_waitcnt lgkmcnt(0)                                       // 000000005038: BF8CC07F
	v_mfma_f32_16x16x32_fp8_fp8 v[100:103], a[108:109], v[56:57], v[100:103]// 00000000503C: D3F30064 0D92716C
	v_mfma_f32_16x16x32_fp8_fp8 v[104:107], a[124:125], v[56:57], v[104:107]// 000000005044: D3F30068 0DA2717C
	v_mfma_f32_16x16x32_fp8_fp8 v[100:103], a[110:111], v[58:59], v[100:103]// 00000000504C: D3F30064 0D92756E
	buffer_load_dwordx4 a[92:95], v207, s[16:19], 0 offen offset:1024// 000000005054: E05C1400 80845CCF
	v_mfma_f32_16x16x32_fp8_fp8 v[104:107], a[126:127], v[58:59], v[104:107]// 00000000505C: D3F30068 0DA2757E
	s_addk_i32 s64, 0x100                                      // 000000005064: B7400100
	s_cmp_lt_i32 s64, s63                                      // 000000005068: BF043F40
	s_cbranch_scc0 label_29CA                                  // 00000000506C: BF841FAE
	s_waitcnt vmcnt(10)                                        // 000000005070: BF8C0F7A
	v_mfma_f32_16x16x32_fp8_fp8 v[28:31], a[0:1], v[12:13], 0  // 000000005074: D3F3001C 0A021900
	s_add_u32 s12, s86, s69                                    // 00000000507C: 800C4556
	s_addc_u32 s13, s87, 0                                     // 000000005080: 820D8057
	v_mfma_f32_16x16x32_fp8_fp8 v[28:31], a[2:3], v[14:15], v[28:31]// 000000005084: D3F3001C 0C721D02
	s_add_u32 s16, s88, s70                                    // 00000000508C: 80104658
	s_addc_u32 s17, s89, 0                                     // 000000005090: 82118059
	v_mfma_f32_16x16x32_fp8_fp8 v[28:31], a[4:5], v[16:17], v[28:31]// 000000005094: D3F3001C 0C722104
	buffer_load_dwordx4 a[32:35], v202, s[12:15], 0 offen      // 00000000509C: E05C1000 808320CA
	v_mfma_f32_16x16x32_fp8_fp8 v[28:31], a[6:7], v[18:19], v[28:31]// 0000000050A4: D3F3001C 0C722506
	s_add_u32 s20, s90, s71                                    // 0000000050AC: 8014475A
	s_addc_u32 s21, s91, 0                                     // 0000000050B0: 8215805B
	v_mfma_f32_16x16x32_fp8_fp8 v[32:35], a[8:9], v[12:13], 0  // 0000000050B4: D3F30020 0A021908
	s_add_u32 s24, s92, s71                                    // 0000000050BC: 8018475C
	s_addc_u32 s25, s93, 0                                     // 0000000050C0: 8219805D
	v_mfma_f32_16x16x32_fp8_fp8 v[32:35], a[10:11], v[14:15], v[32:35]// 0000000050C4: D3F30020 0C821D0A
	s_mul_i32 s69, s59, s50                                    // 0000000050CC: 9245323B
	s_mul_i32 s71, s59, s66                                    // 0000000050D0: 9247423B
	v_mfma_f32_16x16x32_fp8_fp8 v[32:35], a[12:13], v[16:17], v[32:35]// 0000000050D4: D3F30020 0C82210C
	buffer_load_dwordx4 a[36:39], v203, s[12:15], 0 offen      // 0000000050DC: E05C1000 808324CB
	v_mfma_f32_16x16x32_fp8_fp8 v[32:35], a[14:15], v[18:19], v[32:35]// 0000000050E4: D3F30020 0C82250E
	s_mul_i32 s54, s78, s51                                    // 0000000050EC: 9236334E
	s_add_u32 s69, s69, s54                                    // 0000000050F0: 80453645
	v_mfma_f32_16x16x32_fp8_fp8 v[36:39], a[16:17], v[12:13], 0// 0000000050F4: D3F30024 0A021910
	s_mov_b32 s70, s69                                         // 0000000050FC: BEC60045
	v_mfma_f32_16x16x32_fp8_fp8 v[36:39], a[18:19], v[14:15], v[36:39]// 000000005100: D3F30024 0C921D12
	s_mul_i32 s54, s78, s100                                   // 000000005108: 9236644E
	s_add_u32 s71, s71, s54                                    // 00000000510C: 80473647
	v_mfma_f32_16x16x32_fp8_fp8 v[36:39], a[20:21], v[16:17], v[36:39]// 000000005110: D3F30024 0C922114
	buffer_load_dwordx4 a[40:43], v202, s[12:15], 0 offen offset:1024// 000000005118: E05C1400 808328CA
	v_mfma_f32_16x16x32_fp8_fp8 v[36:39], a[22:23], v[18:19], v[36:39]// 000000005120: D3F30024 0C922516
	v_mfma_f32_16x16x32_fp8_fp8 v[40:43], a[24:25], v[12:13], 0// 000000005128: D3F30028 0A021918
	v_mfma_f32_16x16x32_fp8_fp8 v[40:43], a[26:27], v[14:15], v[40:43]// 000000005130: D3F30028 0CA21D1A
	v_mfma_f32_16x16x32_fp8_fp8 v[40:43], a[28:29], v[16:17], v[40:43]// 000000005138: D3F30028 0CA2211C
	buffer_load_dwordx4 a[44:47], v203, s[12:15], 0 offen offset:1024// 000000005140: E05C1400 80832CCB
	v_mfma_f32_16x16x32_fp8_fp8 v[40:43], a[30:31], v[18:19], v[40:43]// 000000005148: D3F30028 0CA2251E
	v_mfma_f32_16x16x32_fp8_fp8 v[44:47], a[0:1], v[20:21], 0  // 000000005150: D3F3002C 0A022900
	v_mfma_f32_16x16x32_fp8_fp8 v[44:47], a[2:3], v[22:23], v[44:47]// 000000005158: D3F3002C 0CB22D02
	v_mfma_f32_16x16x32_fp8_fp8 v[44:47], a[4:5], v[24:25], v[44:47]// 000000005160: D3F3002C 0CB23104
	buffer_load_dwordx4 a[48:51], v202, s[12:15], 0 offen offset:2048// 000000005168: E05C1800 808330CA
	v_mfma_f32_16x16x32_fp8_fp8 v[44:47], a[6:7], v[26:27], v[44:47]// 000000005170: D3F3002C 0CB23506
	v_mfma_f32_16x16x32_fp8_fp8 v[48:51], a[8:9], v[20:21], 0  // 000000005178: D3F30030 0A022908
	v_mfma_f32_16x16x32_fp8_fp8 v[48:51], a[10:11], v[22:23], v[48:51]// 000000005180: D3F30030 0CC22D0A
	v_mfma_f32_16x16x32_fp8_fp8 v[48:51], a[12:13], v[24:25], v[48:51]// 000000005188: D3F30030 0CC2310C
	buffer_load_dwordx4 a[52:55], v203, s[12:15], 0 offen offset:2048// 000000005190: E05C1800 808334CB
	v_mfma_f32_16x16x32_fp8_fp8 v[48:51], a[14:15], v[26:27], v[48:51]// 000000005198: D3F30030 0CC2350E
	v_mfma_f32_16x16x32_fp8_fp8 v[52:55], a[16:17], v[20:21], 0// 0000000051A0: D3F30034 0A022910
	v_mfma_f32_16x16x32_fp8_fp8 v[52:55], a[18:19], v[22:23], v[52:55]// 0000000051A8: D3F30034 0CD22D12
	v_mfma_f32_16x16x32_fp8_fp8 v[52:55], a[20:21], v[24:25], v[52:55]// 0000000051B0: D3F30034 0CD23114
	buffer_load_dwordx4 a[56:59], v202, s[12:15], 0 offen offset:3072// 0000000051B8: E05C1C00 808338CA
	v_mfma_f32_16x16x32_fp8_fp8 v[52:55], a[22:23], v[26:27], v[52:55]// 0000000051C0: D3F30034 0CD23516
	v_mfma_f32_16x16x32_fp8_fp8 v[56:59], a[24:25], v[20:21], 0// 0000000051C8: D3F30038 0A022918
	v_mfma_f32_16x16x32_fp8_fp8 v[56:59], a[26:27], v[22:23], v[56:59]// 0000000051D0: D3F30038 0CE22D1A
	v_mfma_f32_16x16x32_fp8_fp8 v[56:59], a[28:29], v[24:25], v[56:59]// 0000000051D8: D3F30038 0CE2311C
	buffer_load_dwordx4 a[60:63], v203, s[12:15], 0 offen offset:3072// 0000000051E0: E05C1C00 80833CCB
	v_mfma_f32_16x16x32_fp8_fp8 v[56:59], a[30:31], v[26:27], v[56:59]// 0000000051E8: D3F30038 0CE2351E
	s_waitcnt vmcnt(16)                                        // 0000000051F0: BF8C4F70
	v_pk_mul_f32 v[28:29], v[124:125], v[28:29]                // 0000000051F4: D3B1401C 1802397C
	v_pk_mul_f32 v[30:31], v[124:125], v[30:31]                // 0000000051FC: D3B1401E 18023D7C
	v_mul_f32_dpp v28, v128, v28 row_newbcast:0 row_mask:0xf bank_mask:0xf// 000000005204: 0A3838FA FF015080
	v_mul_f32_dpp v29, v128, v29 row_newbcast:1 row_mask:0xf bank_mask:0xf// 00000000520C: 0A3A3AFA FF015180
	v_mul_f32_dpp v30, v128, v30 row_newbcast:2 row_mask:0xf bank_mask:0xf// 000000005214: 0A3C3CFA FF015280
	v_mul_f32_dpp v31, v128, v31 row_newbcast:3 row_mask:0xf bank_mask:0xf// 00000000521C: 0A3E3EFA FF015380
	v_pk_mul_f32 v[32:33], v[124:125], v[32:33]                // 000000005224: D3B14020 1802417C
	v_pk_mul_f32 v[34:35], v[124:125], v[34:35]                // 00000000522C: D3B14022 1802457C
	v_mul_f32_dpp v32, v128, v32 row_newbcast:4 row_mask:0xf bank_mask:0xf// 000000005234: 0A4040FA FF015480
	v_mul_f32_dpp v33, v128, v33 row_newbcast:5 row_mask:0xf bank_mask:0xf// 00000000523C: 0A4242FA FF015580
	v_mul_f32_dpp v34, v128, v34 row_newbcast:6 row_mask:0xf bank_mask:0xf// 000000005244: 0A4444FA FF015680
	v_mul_f32_dpp v35, v128, v35 row_newbcast:7 row_mask:0xf bank_mask:0xf// 00000000524C: 0A4646FA FF015780
	v_pk_mul_f32 v[36:37], v[124:125], v[36:37]                // 000000005254: D3B14024 1802497C
	v_pk_mul_f32 v[38:39], v[124:125], v[38:39]                // 00000000525C: D3B14026 18024D7C
	v_mul_f32_dpp v36, v128, v36 row_newbcast:8 row_mask:0xf bank_mask:0xf// 000000005264: 0A4848FA FF015880
	v_mul_f32_dpp v37, v128, v37 row_newbcast:9 row_mask:0xf bank_mask:0xf// 00000000526C: 0A4A4AFA FF015980
	v_mul_f32_dpp v38, v128, v38 row_newbcast:10 row_mask:0xf bank_mask:0xf// 000000005274: 0A4C4CFA FF015A80
	v_mul_f32_dpp v39, v128, v39 row_newbcast:11 row_mask:0xf bank_mask:0xf// 00000000527C: 0A4E4EFA FF015B80
	v_pk_mul_f32 v[40:41], v[124:125], v[40:41]                // 000000005284: D3B14028 1802517C
	v_pk_mul_f32 v[42:43], v[124:125], v[42:43]                // 00000000528C: D3B1402A 1802557C
	v_mul_f32_dpp v40, v128, v40 row_newbcast:12 row_mask:0xf bank_mask:0xf// 000000005294: 0A5050FA FF015C80
	v_mul_f32_dpp v41, v128, v41 row_newbcast:13 row_mask:0xf bank_mask:0xf// 00000000529C: 0A5252FA FF015D80
	v_mul_f32_dpp v42, v128, v42 row_newbcast:14 row_mask:0xf bank_mask:0xf// 0000000052A4: 0A5454FA FF015E80
	v_mul_f32_dpp v43, v128, v43 row_newbcast:15 row_mask:0xf bank_mask:0xf// 0000000052AC: 0A5656FA FF015F80
	v_pk_mul_f32 v[44:45], v[126:127], v[44:45]                // 0000000052B4: D3B1402C 1802597E
	v_pk_mul_f32 v[46:47], v[126:127], v[46:47]                // 0000000052BC: D3B1402E 18025D7E
	v_mul_f32_dpp v44, v128, v44 row_newbcast:0 row_mask:0xf bank_mask:0xf// 0000000052C4: 0A5858FA FF015080
	v_mul_f32_dpp v45, v128, v45 row_newbcast:1 row_mask:0xf bank_mask:0xf// 0000000052CC: 0A5A5AFA FF015180
	v_mul_f32_dpp v46, v128, v46 row_newbcast:2 row_mask:0xf bank_mask:0xf// 0000000052D4: 0A5C5CFA FF015280
	v_mul_f32_dpp v47, v128, v47 row_newbcast:3 row_mask:0xf bank_mask:0xf// 0000000052DC: 0A5E5EFA FF015380
	v_pk_mul_f32 v[48:49], v[126:127], v[48:49]                // 0000000052E4: D3B14030 1802617E
	v_pk_mul_f32 v[50:51], v[126:127], v[50:51]                // 0000000052EC: D3B14032 1802657E
	v_mul_f32_dpp v48, v128, v48 row_newbcast:4 row_mask:0xf bank_mask:0xf// 0000000052F4: 0A6060FA FF015480
	v_mul_f32_dpp v49, v128, v49 row_newbcast:5 row_mask:0xf bank_mask:0xf// 0000000052FC: 0A6262FA FF015580
	v_mul_f32_dpp v50, v128, v50 row_newbcast:6 row_mask:0xf bank_mask:0xf// 000000005304: 0A6464FA FF015680
	v_mul_f32_dpp v51, v128, v51 row_newbcast:7 row_mask:0xf bank_mask:0xf// 00000000530C: 0A6666FA FF015780
	v_pk_mul_f32 v[52:53], v[126:127], v[52:53]                // 000000005314: D3B14034 1802697E
	v_pk_mul_f32 v[54:55], v[126:127], v[54:55]                // 00000000531C: D3B14036 18026D7E
	v_mul_f32_dpp v52, v128, v52 row_newbcast:8 row_mask:0xf bank_mask:0xf// 000000005324: 0A6868FA FF015880
	v_mul_f32_dpp v53, v128, v53 row_newbcast:9 row_mask:0xf bank_mask:0xf// 00000000532C: 0A6A6AFA FF015980
	v_mul_f32_dpp v54, v128, v54 row_newbcast:10 row_mask:0xf bank_mask:0xf// 000000005334: 0A6C6CFA FF015A80
	v_mul_f32_dpp v55, v128, v55 row_newbcast:11 row_mask:0xf bank_mask:0xf// 00000000533C: 0A6E6EFA FF015B80
	v_pk_mul_f32 v[56:57], v[126:127], v[56:57]                // 000000005344: D3B14038 1802717E
	v_pk_mul_f32 v[58:59], v[126:127], v[58:59]                // 00000000534C: D3B1403A 1802757E
	v_mul_f32_dpp v56, v128, v56 row_newbcast:12 row_mask:0xf bank_mask:0xf// 000000005354: 0A7070FA FF015C80
	v_mul_f32_dpp v57, v128, v57 row_newbcast:13 row_mask:0xf bank_mask:0xf// 00000000535C: 0A7272FA FF015D80
	v_mul_f32_dpp v58, v128, v58 row_newbcast:14 row_mask:0xf bank_mask:0xf// 000000005364: 0A7474FA FF015E80
	v_mul_f32_dpp v59, v128, v59 row_newbcast:15 row_mask:0xf bank_mask:0xf// 00000000536C: 0A7676FA FF015F80
	v_mov_b32_e32 v150, v28                                    // 000000005374: 7F2C031C
	v_max3_f32 v150, v28, v29, v150                            // 000000005378: D1D30096 065A3B1C
	v_max3_f32 v150, v30, v31, v150                            // 000000005380: D1D30096 065A3F1E
	v_max3_f32 v150, v32, v33, v150                            // 000000005388: D1D30096 065A4320
	v_max3_f32 v150, v34, v35, v150                            // 000000005390: D1D30096 065A4722
	v_max3_f32 v150, v36, v37, v150                            // 000000005398: D1D30096 065A4B24
	v_max3_f32 v150, v38, v39, v150                            // 0000000053A0: D1D30096 065A4F26
	v_max3_f32 v150, v40, v41, v150                            // 0000000053A8: D1D30096 065A5328
	v_max3_f32 v150, v42, v43, v150                            // 0000000053B0: D1D30096 065A572A
	v_mov_b32_e32 v151, v44                                    // 0000000053B8: 7F2E032C
	v_max3_f32 v151, v44, v45, v151                            // 0000000053BC: D1D30097 065E5B2C
	v_max3_f32 v151, v46, v47, v151                            // 0000000053C4: D1D30097 065E5F2E
	v_max3_f32 v151, v48, v49, v151                            // 0000000053CC: D1D30097 065E6330
	v_max3_f32 v151, v50, v51, v151                            // 0000000053D4: D1D30097 065E6732
	v_max3_f32 v151, v52, v53, v151                            // 0000000053DC: D1D30097 065E6B34
	v_max3_f32 v151, v54, v55, v151                            // 0000000053E4: D1D30097 065E6F36
	v_max3_f32 v151, v56, v57, v151                            // 0000000053EC: D1D30097 065E7338
	v_max3_f32 v151, v58, v59, v151                            // 0000000053F4: D1D30097 065E773A
	ds_write_b64 v220, v[150:151]                              // 0000000053FC: D89A0000 000096DC
	v_pk_mul_f32 v[108:109], v[142:143], v[108:109]            // 000000005404: D3B1406C 1802D98E
	v_pk_mul_f32 v[110:111], v[142:143], v[110:111]            // 00000000540C: D3B1406E 1802DD8E
	v_pk_mul_f32 v[112:113], v[142:143], v[112:113]            // 000000005414: D3B14070 1802E18E
	v_pk_mul_f32 v[114:115], v[142:143], v[114:115]            // 00000000541C: D3B14072 1802E58E
	v_pk_mul_f32 v[116:117], v[144:145], v[116:117]            // 000000005424: D3B14074 1802E990
	v_pk_mul_f32 v[118:119], v[144:145], v[118:119]            // 00000000542C: D3B14076 1802ED90
	v_pk_mul_f32 v[120:121], v[144:145], v[120:121]            // 000000005434: D3B14078 1802F190
	v_pk_mul_f32 v[122:123], v[144:145], v[122:123]            // 00000000543C: D3B1407A 1802F590
	s_waitcnt lgkmcnt(0)                                       // 000000005444: BF8CC07F
	s_barrier                                                  // 000000005448: BF8A0000
	ds_read_b64 v[154:155], v221                               // 00000000544C: D8EC0000 9A0000DD
	ds_read_b64 v[156:157], v221 offset:128                    // 000000005454: D8EC0080 9C0000DD
	ds_read_b64 v[158:159], v221 offset:256                    // 00000000545C: D8EC0100 9E0000DD
	ds_read_b64 v[160:161], v221 offset:384                    // 000000005464: D8EC0180 A00000DD
	ds_read_b64 v[162:163], v221 offset:512                    // 00000000546C: D8EC0200 A20000DD
	ds_read_b64 v[164:165], v221 offset:640                    // 000000005474: D8EC0280 A40000DD
	ds_read_b64 v[166:167], v221 offset:768                    // 00000000547C: D8EC0300 A60000DD
	ds_read_b64 v[168:169], v221 offset:896                    // 000000005484: D8EC0380 A80000DD
	ds_read_b64 v[170:171], v221 offset:1024                   // 00000000548C: D8EC0400 AA0000DD
	ds_read_b64 v[172:173], v221 offset:1152                   // 000000005494: D8EC0480 AC0000DD
	ds_read_b64 v[174:175], v221 offset:1280                   // 00000000549C: D8EC0500 AE0000DD
	ds_read_b64 v[176:177], v221 offset:1408                   // 0000000054A4: D8EC0580 B00000DD
	ds_read_b64 v[178:179], v221 offset:1536                   // 0000000054AC: D8EC0600 B20000DD
	ds_read_b64 v[180:181], v221 offset:1664                   // 0000000054B4: D8EC0680 B40000DD
	ds_read_b64 v[182:183], v221 offset:1792                   // 0000000054BC: D8EC0700 B60000DD
	ds_read_b64 v[184:185], v221 offset:1920                   // 0000000054C4: D8EC0780 B80000DD
	v_pk_mul_f32 v[92:93], v[132:133], v[92:93]                // 0000000054CC: D3B1405C 1802B984
	v_pk_mul_f32 v[94:95], v[132:133], v[94:95]                // 0000000054D4: D3B1405E 1802BD84
	v_pk_mul_f32 v[96:97], v[132:133], v[96:97]                // 0000000054DC: D3B14060 1802C184
	v_pk_mul_f32 v[98:99], v[132:133], v[98:99]                // 0000000054E4: D3B14062 1802C584
	v_pk_mul_f32 v[100:101], v[134:135], v[100:101]            // 0000000054EC: D3B14064 1802C986
	v_pk_mul_f32 v[102:103], v[134:135], v[102:103]            // 0000000054F4: D3B14066 1802CD86
	v_pk_mul_f32 v[104:105], v[134:135], v[104:105]            // 0000000054FC: D3B14068 1802D186
	v_pk_mul_f32 v[106:107], v[134:135], v[106:107]            // 000000005504: D3B1406A 1802D586
	s_waitcnt lgkmcnt(0)                                       // 00000000550C: BF8CC07F
	v_max3_f32 v150, v154, v156, v150                          // 000000005510: D1D30096 065B399A
	v_max3_f32 v151, v155, v157, v151                          // 000000005518: D1D30097 065F3B9B
	v_max3_f32 v150, v158, v160, v150                          // 000000005520: D1D30096 065B419E
	v_max3_f32 v151, v159, v161, v151                          // 000000005528: D1D30097 065F439F
	v_max3_f32 v150, v162, v164, v150                          // 000000005530: D1D30096 065B49A2
	v_max3_f32 v151, v163, v165, v151                          // 000000005538: D1D30097 065F4BA3
	v_max3_f32 v150, v166, v168, v150                          // 000000005540: D1D30096 065B51A6
	v_max3_f32 v151, v167, v169, v151                          // 000000005548: D1D30097 065F53A7
	v_max3_f32 v150, v170, v172, v150                          // 000000005550: D1D30096 065B59AA
	v_max3_f32 v151, v171, v173, v151                          // 000000005558: D1D30097 065F5BAB
	v_max3_f32 v150, v174, v176, v150                          // 000000005560: D1D30096 065B61AE
	v_max3_f32 v151, v175, v177, v151                          // 000000005568: D1D30097 065F63AF
	v_max3_f32 v150, v178, v180, v150                          // 000000005570: D1D30096 065B69B2
	v_max3_f32 v151, v179, v181, v151                          // 000000005578: D1D30097 065F6BB3
	v_max3_f32 v150, v182, v184, v150                          // 000000005580: D1D30096 065B71B6
	v_max3_f32 v151, v183, v185, v151                          // 000000005588: D1D30097 065F73B7
	v_max_f32_e32 v140, v150, v138                             // 000000005590: 17191596
	v_mul_f32_e64 v186, -s46, v140                             // 000000005594: D10500BA 2003182E
	v_mov_b32_e32 v187, v186                                   // 00000000559C: 7F7603BA
	v_pk_fma_f32 v[28:29], v[28:29], s[46:47], v[186:187]      // 0000000055A0: D3B0401C 1EE85D1C
	v_pk_fma_f32 v[30:31], v[30:31], s[46:47], v[186:187]      // 0000000055A8: D3B0401E 1EE85D1E
	v_exp_f32_e32 v28, v28                                     // 0000000055B0: 7E38411C
	v_exp_f32_e32 v29, v29                                     // 0000000055B4: 7E3A411D
	v_exp_f32_e32 v30, v30                                     // 0000000055B8: 7E3C411E
	v_exp_f32_e32 v31, v31                                     // 0000000055BC: 7E3E411F
	v_pk_fma_f32 v[32:33], v[32:33], s[46:47], v[186:187]      // 0000000055C0: D3B04020 1EE85D20
	v_pk_fma_f32 v[34:35], v[34:35], s[46:47], v[186:187]      // 0000000055C8: D3B04022 1EE85D22
	v_exp_f32_e32 v32, v32                                     // 0000000055D0: 7E404120
	v_exp_f32_e32 v33, v33                                     // 0000000055D4: 7E424121
	v_exp_f32_e32 v34, v34                                     // 0000000055D8: 7E444122
	v_exp_f32_e32 v35, v35                                     // 0000000055DC: 7E464123
	v_pk_fma_f32 v[36:37], v[36:37], s[46:47], v[186:187]      // 0000000055E0: D3B04024 1EE85D24
	v_pk_fma_f32 v[38:39], v[38:39], s[46:47], v[186:187]      // 0000000055E8: D3B04026 1EE85D26
	v_exp_f32_e32 v36, v36                                     // 0000000055F0: 7E484124
	v_exp_f32_e32 v37, v37                                     // 0000000055F4: 7E4A4125
	v_exp_f32_e32 v38, v38                                     // 0000000055F8: 7E4C4126
	v_exp_f32_e32 v39, v39                                     // 0000000055FC: 7E4E4127
	v_pk_fma_f32 v[40:41], v[40:41], s[46:47], v[186:187]      // 000000005600: D3B04028 1EE85D28
	v_pk_fma_f32 v[42:43], v[42:43], s[46:47], v[186:187]      // 000000005608: D3B0402A 1EE85D2A
	v_exp_f32_e32 v40, v40                                     // 000000005610: 7E504128
	v_exp_f32_e32 v41, v41                                     // 000000005614: 7E524129
	v_exp_f32_e32 v42, v42                                     // 000000005618: 7E54412A
	v_exp_f32_e32 v43, v43                                     // 00000000561C: 7E56412B
	v_max_f32_e32 v141, v151, v139                             // 000000005620: 171B1797
	v_mul_f32_e64 v186, -s46, v141                             // 000000005624: D10500BA 20031A2E
	v_mov_b32_e32 v187, v186                                   // 00000000562C: 7F7603BA
	v_pk_fma_f32 v[44:45], v[44:45], s[46:47], v[186:187]      // 000000005630: D3B0402C 1EE85D2C
	v_pk_fma_f32 v[46:47], v[46:47], s[46:47], v[186:187]      // 000000005638: D3B0402E 1EE85D2E
	v_exp_f32_e32 v44, v44                                     // 000000005640: 7E58412C
	v_exp_f32_e32 v45, v45                                     // 000000005644: 7E5A412D
	v_exp_f32_e32 v46, v46                                     // 000000005648: 7E5C412E
	v_exp_f32_e32 v47, v47                                     // 00000000564C: 7E5E412F
	v_pk_fma_f32 v[48:49], v[48:49], s[46:47], v[186:187]      // 000000005650: D3B04030 1EE85D30
	v_pk_fma_f32 v[50:51], v[50:51], s[46:47], v[186:187]      // 000000005658: D3B04032 1EE85D32
	v_exp_f32_e32 v48, v48                                     // 000000005660: 7E604130
	v_exp_f32_e32 v49, v49                                     // 000000005664: 7E624131
	v_exp_f32_e32 v50, v50                                     // 000000005668: 7E644132
	v_exp_f32_e32 v51, v51                                     // 00000000566C: 7E664133
	v_pk_fma_f32 v[52:53], v[52:53], s[46:47], v[186:187]      // 000000005670: D3B04034 1EE85D34
	v_pk_fma_f32 v[54:55], v[54:55], s[46:47], v[186:187]      // 000000005678: D3B04036 1EE85D36
	v_exp_f32_e32 v52, v52                                     // 000000005680: 7E684134
	v_exp_f32_e32 v53, v53                                     // 000000005684: 7E6A4135
	v_exp_f32_e32 v54, v54                                     // 000000005688: 7E6C4136
	v_exp_f32_e32 v55, v55                                     // 00000000568C: 7E6E4137
	v_pk_fma_f32 v[56:57], v[56:57], s[46:47], v[186:187]      // 000000005690: D3B04038 1EE85D38
	v_pk_fma_f32 v[58:59], v[58:59], s[46:47], v[186:187]      // 000000005698: D3B0403A 1EE85D3A
	v_exp_f32_e32 v56, v56                                     // 0000000056A0: 7E704138
	v_exp_f32_e32 v57, v57                                     // 0000000056A4: 7E724139
	v_exp_f32_e32 v58, v58                                     // 0000000056A8: 7E74413A
	v_exp_f32_e32 v59, v59                                     // 0000000056AC: 7E76413B
	v_mul_f32_dpp v60, v130, v28 row_newbcast:0 row_mask:0xf bank_mask:0xf// 0000000056B0: 0A7838FA FF015082
	v_mul_f32_dpp v61, v130, v29 row_newbcast:1 row_mask:0xf bank_mask:0xf// 0000000056B8: 0A7A3AFA FF015182
	v_mul_f32_dpp v62, v130, v30 row_newbcast:2 row_mask:0xf bank_mask:0xf// 0000000056C0: 0A7C3CFA FF015282
	v_mul_f32_dpp v63, v130, v31 row_newbcast:3 row_mask:0xf bank_mask:0xf// 0000000056C8: 0A7E3EFA FF015382
	v_mul_f32_dpp v64, v130, v32 row_newbcast:4 row_mask:0xf bank_mask:0xf// 0000000056D0: 0A8040FA FF015482
	v_mul_f32_dpp v65, v130, v33 row_newbcast:5 row_mask:0xf bank_mask:0xf// 0000000056D8: 0A8242FA FF015582
	v_mul_f32_dpp v66, v130, v34 row_newbcast:6 row_mask:0xf bank_mask:0xf// 0000000056E0: 0A8444FA FF015682
	v_mul_f32_dpp v67, v130, v35 row_newbcast:7 row_mask:0xf bank_mask:0xf// 0000000056E8: 0A8646FA FF015782
	v_mul_f32_dpp v68, v130, v36 row_newbcast:8 row_mask:0xf bank_mask:0xf// 0000000056F0: 0A8848FA FF015882
	v_mul_f32_dpp v69, v130, v37 row_newbcast:9 row_mask:0xf bank_mask:0xf// 0000000056F8: 0A8A4AFA FF015982
	v_mul_f32_dpp v70, v130, v38 row_newbcast:10 row_mask:0xf bank_mask:0xf// 000000005700: 0A8C4CFA FF015A82
	v_mul_f32_dpp v71, v130, v39 row_newbcast:11 row_mask:0xf bank_mask:0xf// 000000005708: 0A8E4EFA FF015B82
	v_mul_f32_dpp v72, v130, v40 row_newbcast:12 row_mask:0xf bank_mask:0xf// 000000005710: 0A9050FA FF015C82
	v_mul_f32_dpp v73, v130, v41 row_newbcast:13 row_mask:0xf bank_mask:0xf// 000000005718: 0A9252FA FF015D82
	v_mul_f32_dpp v74, v130, v42 row_newbcast:14 row_mask:0xf bank_mask:0xf// 000000005720: 0A9454FA FF015E82
	v_mul_f32_dpp v75, v130, v43 row_newbcast:15 row_mask:0xf bank_mask:0xf// 000000005728: 0A9656FA FF015F82
	v_mul_f32_dpp v76, v130, v44 row_newbcast:0 row_mask:0xf bank_mask:0xf// 000000005730: 0A9858FA FF015082
	v_mul_f32_dpp v77, v130, v45 row_newbcast:1 row_mask:0xf bank_mask:0xf// 000000005738: 0A9A5AFA FF015182
	v_mul_f32_dpp v78, v130, v46 row_newbcast:2 row_mask:0xf bank_mask:0xf// 000000005740: 0A9C5CFA FF015282
	v_mul_f32_dpp v79, v130, v47 row_newbcast:3 row_mask:0xf bank_mask:0xf// 000000005748: 0A9E5EFA FF015382
	v_mul_f32_dpp v80, v130, v48 row_newbcast:4 row_mask:0xf bank_mask:0xf// 000000005750: 0AA060FA FF015482
	v_mul_f32_dpp v81, v130, v49 row_newbcast:5 row_mask:0xf bank_mask:0xf// 000000005758: 0AA262FA FF015582
	v_mul_f32_dpp v82, v130, v50 row_newbcast:6 row_mask:0xf bank_mask:0xf// 000000005760: 0AA464FA FF015682
	v_mul_f32_dpp v83, v130, v51 row_newbcast:7 row_mask:0xf bank_mask:0xf// 000000005768: 0AA666FA FF015782
	v_mul_f32_dpp v84, v130, v52 row_newbcast:8 row_mask:0xf bank_mask:0xf// 000000005770: 0AA868FA FF015882
	v_mul_f32_dpp v85, v130, v53 row_newbcast:9 row_mask:0xf bank_mask:0xf// 000000005778: 0AAA6AFA FF015982
	v_mul_f32_dpp v86, v130, v54 row_newbcast:10 row_mask:0xf bank_mask:0xf// 000000005780: 0AAC6CFA FF015A82
	v_mul_f32_dpp v87, v130, v55 row_newbcast:11 row_mask:0xf bank_mask:0xf// 000000005788: 0AAE6EFA FF015B82
	v_mul_f32_dpp v88, v130, v56 row_newbcast:12 row_mask:0xf bank_mask:0xf// 000000005790: 0AB070FA FF015C82
	v_mul_f32_dpp v89, v130, v57 row_newbcast:13 row_mask:0xf bank_mask:0xf// 000000005798: 0AB272FA FF015D82
	v_mul_f32_dpp v90, v130, v58 row_newbcast:14 row_mask:0xf bank_mask:0xf// 0000000057A0: 0AB474FA FF015E82
	v_mul_f32_dpp v91, v130, v59 row_newbcast:15 row_mask:0xf bank_mask:0xf// 0000000057A8: 0AB676FA FF015F82
	v_mov_b32_e32 v150, 0x358637bd                             // 0000000057B0: 7F2C02FF 358637BD
	v_max3_f32 v150, |v60|, |v61|, v150                        // 0000000057B8: D1D30396 065A7B3C
	v_max3_f32 v150, |v62|, |v63|, v150                        // 0000000057C0: D1D30396 065A7F3E
	v_max3_f32 v150, |v64|, |v65|, v150                        // 0000000057C8: D1D30396 065A8340
	v_max3_f32 v150, |v66|, |v67|, v150                        // 0000000057D0: D1D30396 065A8742
	v_max3_f32 v150, |v68|, |v69|, v150                        // 0000000057D8: D1D30396 065A8B44
	v_max3_f32 v150, |v70|, |v71|, v150                        // 0000000057E0: D1D30396 065A8F46
	v_max3_f32 v150, |v72|, |v73|, v150                        // 0000000057E8: D1D30396 065A9348
	v_max3_f32 v150, |v74|, |v75|, v150                        // 0000000057F0: D1D30396 065A974A
	v_mov_b32_e32 v151, 0x358637bd                             // 0000000057F8: 7F2E02FF 358637BD
	v_max3_f32 v151, |v76|, |v77|, v151                        // 000000005800: D1D30397 065E9B4C
	v_max3_f32 v151, |v78|, |v79|, v151                        // 000000005808: D1D30397 065E9F4E
	v_max3_f32 v151, |v80|, |v81|, v151                        // 000000005810: D1D30397 065EA350
	v_max3_f32 v151, |v82|, |v83|, v151                        // 000000005818: D1D30397 065EA752
	v_max3_f32 v151, |v84|, |v85|, v151                        // 000000005820: D1D30397 065EAB54
	v_max3_f32 v151, |v86|, |v87|, v151                        // 000000005828: D1D30397 065EAF56
	v_max3_f32 v151, |v88|, |v89|, v151                        // 000000005830: D1D30397 065EB358
	v_max3_f32 v151, |v90|, |v91|, v151                        // 000000005838: D1D30397 065EB75A
	ds_write_b64 v220, v[150:151] offset:2304                  // 000000005840: D89A0900 000096DC
	buffer_load_dword v129, v208, s[20:23], 0 offen            // 000000005848: E0501000 800581D0
	v_sub_f32_e32 v142, v138, v140                             // 000000005850: 051D198A
	v_cmp_eq_u32_e64 s[98:99], v197, v138                      // 000000005854: D0CA0062 000315C5
	v_cndmask_b32_e64 v142, v142, 0, s[98:99]                  // 00000000585C: D100008E 0189018E
	v_mov_b32_e32 v138, v140                                   // 000000005864: 7F14038C
	v_mul_f32_e32 v142, s46, v142                              // 000000005868: 0B1D1C2E
	v_exp_f32_e32 v142, v142                                   // 00000000586C: 7F1C418E
	v_sub_f32_e32 v144, v139, v141                             // 000000005870: 05211B8B
	v_cmp_eq_u32_e64 s[98:99], v197, v139                      // 000000005874: D0CA0062 000317C5
	v_cndmask_b32_e64 v144, v144, 0, s[98:99]                  // 00000000587C: D1000090 01890190
	v_mov_b32_e32 v139, v141                                   // 000000005884: 7F16038D
	v_mul_f32_e32 v144, s46, v144                              // 000000005888: 0B21202E
	v_exp_f32_e32 v144, v144                                   // 00000000588C: 7F204190
	v_mov_b32_e32 v143, v142                                   // 000000005890: 7F1E038E
	v_mov_b32_e32 v145, v144                                   // 000000005894: 7F220390
	buffer_load_dword v131, v209, s[24:27], 0 offen            // 000000005898: E0501000 800683D1
	s_waitcnt lgkmcnt(0)                                       // 0000000058A0: BF8CC07F
	s_barrier                                                  // 0000000058A4: BF8A0000
	ds_read_b64 v[154:155], v221 offset:2304                   // 0000000058A8: D8EC0900 9A0000DD
	ds_read_b64 v[156:157], v221 offset:2432                   // 0000000058B0: D8EC0980 9C0000DD
	ds_read_b64 v[158:159], v221 offset:2560                   // 0000000058B8: D8EC0A00 9E0000DD
	ds_read_b64 v[160:161], v221 offset:2688                   // 0000000058C0: D8EC0A80 A00000DD
	ds_read_b64 v[162:163], v221 offset:2816                   // 0000000058C8: D8EC0B00 A20000DD
	ds_read_b64 v[164:165], v221 offset:2944                   // 0000000058D0: D8EC0B80 A40000DD
	ds_read_b64 v[166:167], v221 offset:3072                   // 0000000058D8: D8EC0C00 A60000DD
	ds_read_b64 v[168:169], v221 offset:3200                   // 0000000058E0: D8EC0C80 A80000DD
	ds_read_b64 v[170:171], v221 offset:3328                   // 0000000058E8: D8EC0D00 AA0000DD
	ds_read_b64 v[172:173], v221 offset:3456                   // 0000000058F0: D8EC0D80 AC0000DD
	ds_read_b64 v[174:175], v221 offset:3584                   // 0000000058F8: D8EC0E00 AE0000DD
	ds_read_b64 v[176:177], v221 offset:3712                   // 000000005900: D8EC0E80 B00000DD
	ds_read_b64 v[178:179], v221 offset:3840                   // 000000005908: D8EC0F00 B20000DD
	ds_read_b64 v[180:181], v221 offset:3968                   // 000000005910: D8EC0F80 B40000DD
	ds_read_b64 v[182:183], v221 offset:4096                   // 000000005918: D8EC1000 B60000DD
	ds_read_b64 v[184:185], v221 offset:4224                   // 000000005920: D8EC1080 B80000DD
	v_mul_f32_e32 v146, v142, v146                             // 000000005928: 0B25258E
	v_mov_b32_e32 v147, 0                                      // 00000000592C: 7F260280
	v_pk_add_f32 v[146:147], v[28:29], v[146:147]              // 000000005930: D3B24092 1803251C
	v_pk_add_f32 v[146:147], v[30:31], v[146:147]              // 000000005938: D3B24092 1803251E
	v_pk_add_f32 v[146:147], v[32:33], v[146:147]              // 000000005940: D3B24092 18032520
	v_pk_add_f32 v[146:147], v[34:35], v[146:147]              // 000000005948: D3B24092 18032522
	v_pk_add_f32 v[146:147], v[36:37], v[146:147]              // 000000005950: D3B24092 18032524
	v_pk_add_f32 v[146:147], v[38:39], v[146:147]              // 000000005958: D3B24092 18032526
	v_pk_add_f32 v[146:147], v[40:41], v[146:147]              // 000000005960: D3B24092 18032528
	v_pk_add_f32 v[146:147], v[42:43], v[146:147]              // 000000005968: D3B24092 1803252A
	v_add_f32_e32 v146, v147, v146                             // 000000005970: 03252593
	v_mul_f32_e32 v148, v144, v148                             // 000000005974: 0B292990
	v_mov_b32_e32 v149, 0                                      // 000000005978: 7F2A0280
	v_pk_add_f32 v[148:149], v[44:45], v[148:149]              // 00000000597C: D3B24094 1803292C
	v_pk_add_f32 v[148:149], v[46:47], v[148:149]              // 000000005984: D3B24094 1803292E
	v_pk_add_f32 v[148:149], v[48:49], v[148:149]              // 00000000598C: D3B24094 18032930
	v_pk_add_f32 v[148:149], v[50:51], v[148:149]              // 000000005994: D3B24094 18032932
	v_pk_add_f32 v[148:149], v[52:53], v[148:149]              // 00000000599C: D3B24094 18032934
	v_pk_add_f32 v[148:149], v[54:55], v[148:149]              // 0000000059A4: D3B24094 18032936
	v_pk_add_f32 v[148:149], v[56:57], v[148:149]              // 0000000059AC: D3B24094 18032938
	v_pk_add_f32 v[148:149], v[58:59], v[148:149]              // 0000000059B4: D3B24094 1803293A
	v_add_f32_e32 v148, v149, v148                             // 0000000059BC: 03292995
	s_waitcnt lgkmcnt(0)                                       // 0000000059C0: BF8CC07F
	v_max3_f32 v150, v154, v156, v150                          // 0000000059C4: D1D30096 065B399A
	v_max3_f32 v151, v155, v157, v151                          // 0000000059CC: D1D30097 065F3B9B
	v_max3_f32 v150, v158, v160, v150                          // 0000000059D4: D1D30096 065B419E
	v_max3_f32 v151, v159, v161, v151                          // 0000000059DC: D1D30097 065F439F
	v_max3_f32 v150, v162, v164, v150                          // 0000000059E4: D1D30096 065B49A2
	v_max3_f32 v151, v163, v165, v151                          // 0000000059EC: D1D30097 065F4BA3
	v_max3_f32 v150, v166, v168, v150                          // 0000000059F4: D1D30096 065B51A6
	v_max3_f32 v151, v167, v169, v151                          // 0000000059FC: D1D30097 065F53A7
	v_max3_f32 v150, v170, v172, v150                          // 000000005A04: D1D30096 065B59AA
	v_max3_f32 v151, v171, v173, v151                          // 000000005A0C: D1D30097 065F5BAB
	v_max3_f32 v150, v174, v176, v150                          // 000000005A14: D1D30096 065B61AE
	v_max3_f32 v151, v175, v177, v151                          // 000000005A1C: D1D30097 065F63AF
	v_max3_f32 v150, v178, v180, v150                          // 000000005A24: D1D30096 065B69B2
	v_max3_f32 v151, v179, v181, v151                          // 000000005A2C: D1D30097 065F6BB3
	v_max3_f32 v150, v182, v184, v150                          // 000000005A34: D1D30096 065B71B6
	v_max3_f32 v151, v183, v185, v151                          // 000000005A3C: D1D30097 065F73B7
	v_rcp_f32_e32 v150, v150                                   // 000000005A44: 7F2C4596
	v_rcp_f32_e32 v151, v151                                   // 000000005A48: 7F2E4597
	v_mul_f32_e32 v150, 0x43700000, v150                       // 000000005A4C: 0B2D2CFF 43700000
	v_mul_f32_e32 v151, 0x43700000, v151                       // 000000005A54: 0B2F2EFF 43700000
	v_mov_b32_e32 v152, v151                                   // 000000005A5C: 7F300397
	v_mov_b32_e32 v153, v151                                   // 000000005A60: 7F320397
	v_mov_b32_e32 v151, v150                                   // 000000005A64: 7F2E0396
	v_pk_mul_f32 v[28:29], v[150:151], v[60:61]                // 000000005A68: D3B1401C 18027996
	v_pk_mul_f32 v[30:31], v[150:151], v[62:63]                // 000000005A70: D3B1401E 18027D96
	v_pk_mul_f32 v[32:33], v[150:151], v[64:65]                // 000000005A78: D3B14020 18028196
	v_pk_mul_f32 v[34:35], v[150:151], v[66:67]                // 000000005A80: D3B14022 18028596
	v_pk_mul_f32 v[36:37], v[150:151], v[68:69]                // 000000005A88: D3B14024 18028996
	v_pk_mul_f32 v[38:39], v[150:151], v[70:71]                // 000000005A90: D3B14026 18028D96
	v_pk_mul_f32 v[40:41], v[150:151], v[72:73]                // 000000005A98: D3B14028 18029196
	v_pk_mul_f32 v[42:43], v[150:151], v[74:75]                // 000000005AA0: D3B1402A 18029596
	v_pk_mul_f32 v[44:45], v[152:153], v[76:77]                // 000000005AA8: D3B1402C 18029998
	v_pk_mul_f32 v[46:47], v[152:153], v[78:79]                // 000000005AB0: D3B1402E 18029D98
	v_pk_mul_f32 v[48:49], v[152:153], v[80:81]                // 000000005AB8: D3B14030 1802A198
	v_pk_mul_f32 v[50:51], v[152:153], v[82:83]                // 000000005AC0: D3B14032 1802A598
	v_pk_mul_f32 v[52:53], v[152:153], v[84:85]                // 000000005AC8: D3B14034 1802A998
	v_pk_mul_f32 v[54:55], v[152:153], v[86:87]                // 000000005AD0: D3B14036 1802AD98
	v_pk_mul_f32 v[56:57], v[152:153], v[88:89]                // 000000005AD8: D3B14038 1802B198
	v_pk_mul_f32 v[58:59], v[152:153], v[90:91]                // 000000005AE0: D3B1403A 1802B598
	v_cvt_pk_fp8_f32 v28, v28, v29                             // 000000005AE8: D2A2001C 00023B1C
	v_cvt_pk_fp8_f32 v28, v30, v31 op_sel:[0,0,1]              // 000000005AF0: D2A2401C 00023F1E
	v_cvt_pk_fp8_f32 v29, v32, v33                             // 000000005AF8: D2A2001D 00024320
	v_cvt_pk_fp8_f32 v29, v34, v35 op_sel:[0,0,1]              // 000000005B00: D2A2401D 00024722
	v_cvt_pk_fp8_f32 v30, v36, v37                             // 000000005B08: D2A2001E 00024B24
	v_cvt_pk_fp8_f32 v30, v38, v39 op_sel:[0,0,1]              // 000000005B10: D2A2401E 00024F26
	v_cvt_pk_fp8_f32 v31, v40, v41                             // 000000005B18: D2A2001F 00025328
	v_cvt_pk_fp8_f32 v31, v42, v43 op_sel:[0,0,1]              // 000000005B20: D2A2401F 0002572A
	v_cvt_pk_fp8_f32 v32, v44, v45                             // 000000005B28: D2A20020 00025B2C
	v_cvt_pk_fp8_f32 v32, v46, v47 op_sel:[0,0,1]              // 000000005B30: D2A24020 00025F2E
	v_cvt_pk_fp8_f32 v33, v48, v49                             // 000000005B38: D2A20021 00026330
	v_cvt_pk_fp8_f32 v33, v50, v51 op_sel:[0,0,1]              // 000000005B40: D2A24021 00026732
	v_cvt_pk_fp8_f32 v34, v52, v53                             // 000000005B48: D2A20022 00026B34
	v_cvt_pk_fp8_f32 v34, v54, v55 op_sel:[0,0,1]              // 000000005B50: D2A24022 00026F36
	v_cvt_pk_fp8_f32 v35, v56, v57                             // 000000005B58: D2A20023 00027338
	v_cvt_pk_fp8_f32 v35, v58, v59 op_sel:[0,0,1]              // 000000005B60: D2A24023 0002773A
	ds_write_b32 v222, v28 offset:4608                         // 000000005B68: D81A1200 00001CDE
	ds_write_b32 v222, v29 offset:5632                         // 000000005B70: D81A1600 00001DDE
	ds_write_b32 v222, v30 offset:6656                         // 000000005B78: D81A1A00 00001EDE
	ds_write_b32 v222, v31 offset:7680                         // 000000005B80: D81A1E00 00001FDE
	ds_write_b32 v222, v32 offset:8704                         // 000000005B88: D81A2200 000020DE
	ds_write_b32 v222, v33 offset:9728                         // 000000005B90: D81A2600 000021DE
	ds_write_b32 v222, v34 offset:10752                        // 000000005B98: D81A2A00 000022DE
	ds_write_b32 v222, v35 offset:11776                        // 000000005BA0: D81A2E00 000023DE
	v_rcp_f32_e32 v132, v150                                   // 000000005BA8: 7F084596
	v_rcp_f32_e32 v134, v152                                   // 000000005BAC: 7F0C4598
	v_mov_b32_e32 v133, v132                                   // 000000005BB0: 7F0A0384
	v_mov_b32_e32 v135, v134                                   // 000000005BB4: 7F0E0386
	v_pk_add_f32 v[108:109], v[108:109], v[92:93]              // 000000005BB8: D3B2406C 1802B96C
	v_pk_add_f32 v[110:111], v[110:111], v[94:95]              // 000000005BC0: D3B2406E 1802BD6E
	v_pk_add_f32 v[112:113], v[112:113], v[96:97]              // 000000005BC8: D3B24070 1802C170
	v_pk_add_f32 v[114:115], v[114:115], v[98:99]              // 000000005BD0: D3B24072 1802C572
	v_pk_add_f32 v[116:117], v[116:117], v[100:101]            // 000000005BD8: D3B24074 1802C974
	v_pk_add_f32 v[118:119], v[118:119], v[102:103]            // 000000005BE0: D3B24076 1802CD76
	v_pk_add_f32 v[120:121], v[120:121], v[104:105]            // 000000005BE8: D3B24078 1802D178
	v_pk_add_f32 v[122:123], v[122:123], v[106:107]            // 000000005BF0: D3B2407A 1802D57A
	s_waitcnt lgkmcnt(0)                                       // 000000005BF8: BF8CC07F
	s_barrier                                                  // 000000005BFC: BF8A0000
	ds_read_b128 v[28:31], v223 offset:4608                    // 000000005C00: D9FE1200 1C0000DF
	ds_read_b128 v[32:35], v223 offset:5632                    // 000000005C08: D9FE1600 200000DF
	ds_read_b128 v[36:39], v223 offset:6656                    // 000000005C10: D9FE1A00 240000DF
	ds_read_b128 v[40:43], v223 offset:7680                    // 000000005C18: D9FE1E00 280000DF
	ds_read_b128 v[44:47], v223 offset:8704                    // 000000005C20: D9FE2200 2C0000DF
	ds_read_b128 v[48:51], v223 offset:9728                    // 000000005C28: D9FE2600 300000DF
	ds_read_b128 v[52:55], v223 offset:10752                   // 000000005C30: D9FE2A00 340000DF
	ds_read_b128 v[56:59], v223 offset:11776                   // 000000005C38: D9FE2E00 380000DF
	s_waitcnt vmcnt(10)                                        // 000000005C40: BF8C0F7A
	s_waitcnt lgkmcnt(7)                                       // 000000005C44: BF8CC77F
	v_mfma_f32_16x16x32_fp8_fp8 v[92:95], a[64:65], v[28:29], 0// 000000005C48: D3F3005C 0A023940
	v_mfma_f32_16x16x32_fp8_fp8 v[96:99], a[80:81], v[28:29], 0// 000000005C50: D3F30060 0A023950
	v_mfma_f32_16x16x32_fp8_fp8 v[92:95], a[66:67], v[30:31], v[92:95]// 000000005C58: D3F3005C 0D723D42
	buffer_load_dwordx4 a[96:99], v204, s[16:19], 0 offen      // 000000005C60: E05C1000 808460CC
	v_mfma_f32_16x16x32_fp8_fp8 v[96:99], a[82:83], v[30:31], v[96:99]// 000000005C68: D3F30060 0D823D52
	s_waitcnt lgkmcnt(6)                                       // 000000005C70: BF8CC67F
	v_mfma_f32_16x16x32_fp8_fp8 v[92:95], a[68:69], v[32:33], v[92:95]// 000000005C74: D3F3005C 0D724144
	v_mfma_f32_16x16x32_fp8_fp8 v[96:99], a[84:85], v[32:33], v[96:99]// 000000005C7C: D3F30060 0D824154
	v_mfma_f32_16x16x32_fp8_fp8 v[92:95], a[70:71], v[34:35], v[92:95]// 000000005C84: D3F3005C 0D724546
	buffer_load_dwordx4 a[100:103], v205, s[16:19], 0 offen    // 000000005C8C: E05C1000 808464CD
	v_mfma_f32_16x16x32_fp8_fp8 v[96:99], a[86:87], v[34:35], v[96:99]// 000000005C94: D3F30060 0D824556
	s_waitcnt lgkmcnt(5)                                       // 000000005C9C: BF8CC57F
	v_mfma_f32_16x16x32_fp8_fp8 v[92:95], a[72:73], v[36:37], v[92:95]// 000000005CA0: D3F3005C 0D724948
	v_mfma_f32_16x16x32_fp8_fp8 v[96:99], a[88:89], v[36:37], v[96:99]// 000000005CA8: D3F30060 0D824958
	v_mfma_f32_16x16x32_fp8_fp8 v[92:95], a[74:75], v[38:39], v[92:95]// 000000005CB0: D3F3005C 0D724D4A
	buffer_load_dwordx4 a[104:107], v206, s[16:19], 0 offen    // 000000005CB8: E05C1000 808468CE
	v_mfma_f32_16x16x32_fp8_fp8 v[96:99], a[90:91], v[38:39], v[96:99]// 000000005CC0: D3F30060 0D824D5A
	s_waitcnt lgkmcnt(4)                                       // 000000005CC8: BF8CC47F
	v_mfma_f32_16x16x32_fp8_fp8 v[92:95], a[76:77], v[40:41], v[92:95]// 000000005CCC: D3F3005C 0D72514C
	v_mfma_f32_16x16x32_fp8_fp8 v[96:99], a[92:93], v[40:41], v[96:99]// 000000005CD4: D3F30060 0D82515C
	v_mfma_f32_16x16x32_fp8_fp8 v[92:95], a[78:79], v[42:43], v[92:95]// 000000005CDC: D3F3005C 0D72554E
	buffer_load_dwordx4 a[108:111], v207, s[16:19], 0 offen    // 000000005CE4: E05C1000 80846CCF
	v_mfma_f32_16x16x32_fp8_fp8 v[96:99], a[94:95], v[42:43], v[96:99]// 000000005CEC: D3F30060 0D82555E
	s_waitcnt lgkmcnt(3)                                       // 000000005CF4: BF8CC37F
	v_mfma_f32_16x16x32_fp8_fp8 v[100:103], a[64:65], v[44:45], 0// 000000005CF8: D3F30064 0A025940
	v_mfma_f32_16x16x32_fp8_fp8 v[104:107], a[80:81], v[44:45], 0// 000000005D00: D3F30068 0A025950
	v_mfma_f32_16x16x32_fp8_fp8 v[100:103], a[66:67], v[46:47], v[100:103]// 000000005D08: D3F30064 0D925D42
	buffer_load_dwordx4 a[112:115], v204, s[16:19], 0 offen offset:1024// 000000005D10: E05C1400 808470CC
	v_mfma_f32_16x16x32_fp8_fp8 v[104:107], a[82:83], v[46:47], v[104:107]// 000000005D18: D3F30068 0DA25D52
	s_waitcnt lgkmcnt(2)                                       // 000000005D20: BF8CC27F
	v_mfma_f32_16x16x32_fp8_fp8 v[100:103], a[68:69], v[48:49], v[100:103]// 000000005D24: D3F30064 0D926144
	v_mfma_f32_16x16x32_fp8_fp8 v[104:107], a[84:85], v[48:49], v[104:107]// 000000005D2C: D3F30068 0DA26154
	v_mfma_f32_16x16x32_fp8_fp8 v[100:103], a[70:71], v[50:51], v[100:103]// 000000005D34: D3F30064 0D926546
	buffer_load_dwordx4 a[116:119], v205, s[16:19], 0 offen offset:1024// 000000005D3C: E05C1400 808474CD
	v_mfma_f32_16x16x32_fp8_fp8 v[104:107], a[86:87], v[50:51], v[104:107]// 000000005D44: D3F30068 0DA26556
	s_waitcnt lgkmcnt(1)                                       // 000000005D4C: BF8CC17F
	v_mfma_f32_16x16x32_fp8_fp8 v[100:103], a[72:73], v[52:53], v[100:103]// 000000005D50: D3F30064 0D926948
	v_mfma_f32_16x16x32_fp8_fp8 v[104:107], a[88:89], v[52:53], v[104:107]// 000000005D58: D3F30068 0DA26958
	v_mfma_f32_16x16x32_fp8_fp8 v[100:103], a[74:75], v[54:55], v[100:103]// 000000005D60: D3F30064 0D926D4A
	buffer_load_dwordx4 a[120:123], v206, s[16:19], 0 offen offset:1024// 000000005D68: E05C1400 808478CE
	v_mfma_f32_16x16x32_fp8_fp8 v[104:107], a[90:91], v[54:55], v[104:107]// 000000005D70: D3F30068 0DA26D5A
	s_waitcnt lgkmcnt(0)                                       // 000000005D78: BF8CC07F
	v_mfma_f32_16x16x32_fp8_fp8 v[100:103], a[76:77], v[56:57], v[100:103]// 000000005D7C: D3F30064 0D92714C
	v_mfma_f32_16x16x32_fp8_fp8 v[104:107], a[92:93], v[56:57], v[104:107]// 000000005D84: D3F30068 0DA2715C
	v_mfma_f32_16x16x32_fp8_fp8 v[100:103], a[78:79], v[58:59], v[100:103]// 000000005D8C: D3F30064 0D92754E
	buffer_load_dwordx4 a[124:127], v207, s[16:19], 0 offen offset:1024// 000000005D94: E05C1400 80847CCF
	v_mfma_f32_16x16x32_fp8_fp8 v[104:107], a[94:95], v[58:59], v[104:107]// 000000005D9C: D3F30068 0DA2755E
	s_addk_i32 s64, 0x100                                      // 000000005DA4: B7400100
	s_cmp_lt_i32 s64, s63                                      // 000000005DA8: BF043F40
	s_cbranch_scc0 label_2FAE                                  // 000000005DAC: BF842242
	s_waitcnt vmcnt(10)                                        // 000000005DB0: BF8C0F7A
	v_mfma_f32_16x16x32_fp8_fp8 v[28:31], a[32:33], v[12:13], 0// 000000005DB4: D3F3001C 0A021920
	s_add_u32 s12, s86, s69                                    // 000000005DBC: 800C4556
	s_addc_u32 s13, s87, 0                                     // 000000005DC0: 820D8057
	v_mfma_f32_16x16x32_fp8_fp8 v[28:31], a[34:35], v[14:15], v[28:31]// 000000005DC4: D3F3001C 0C721D22
	s_add_u32 s16, s88, s70                                    // 000000005DCC: 80104658
	s_addc_u32 s17, s89, 0                                     // 000000005DD0: 82118059
	v_mfma_f32_16x16x32_fp8_fp8 v[28:31], a[36:37], v[16:17], v[28:31]// 000000005DD4: D3F3001C 0C722124
	buffer_load_dwordx4 a[0:3], v202, s[12:15], 0 offen        // 000000005DDC: E05C1000 808300CA
	v_mfma_f32_16x16x32_fp8_fp8 v[28:31], a[38:39], v[18:19], v[28:31]// 000000005DE4: D3F3001C 0C722526
	s_add_u32 s20, s90, s71                                    // 000000005DEC: 8014475A
	s_addc_u32 s21, s91, 0                                     // 000000005DF0: 8215805B
	v_mfma_f32_16x16x32_fp8_fp8 v[32:35], a[40:41], v[12:13], 0// 000000005DF4: D3F30020 0A021928
	s_add_u32 s24, s92, s71                                    // 000000005DFC: 8018475C
	s_addc_u32 s25, s93, 0                                     // 000000005E00: 8219805D
	v_mfma_f32_16x16x32_fp8_fp8 v[32:35], a[42:43], v[14:15], v[32:35]// 000000005E04: D3F30020 0C821D2A
	s_add_u32 s69, s69, 0x1000                                 // 000000005E0C: 8045FF45 00001000
	s_add_u32 s70, s70, 0x8000                                 // 000000005E14: 8046FF46 00008000
	v_mfma_f32_16x16x32_fp8_fp8 v[32:35], a[44:45], v[16:17], v[32:35]// 000000005E1C: D3F30020 0C82212C
	buffer_load_dwordx4 a[4:7], v203, s[12:15], 0 offen        // 000000005E24: E05C1000 808304CB
	v_mfma_f32_16x16x32_fp8_fp8 v[32:35], a[46:47], v[18:19], v[32:35]// 000000005E2C: D3F30020 0C82252E
	s_add_u32 s71, s71, 0x400                                  // 000000005E34: 8047FF47 00000400
	v_mfma_f32_16x16x32_fp8_fp8 v[36:39], a[48:49], v[12:13], 0// 000000005E3C: D3F30024 0A021930
	v_mfma_f32_16x16x32_fp8_fp8 v[36:39], a[50:51], v[14:15], v[36:39]// 000000005E44: D3F30024 0C921D32
	v_mfma_f32_16x16x32_fp8_fp8 v[36:39], a[52:53], v[16:17], v[36:39]// 000000005E4C: D3F30024 0C922134
	buffer_load_dwordx4 a[8:11], v202, s[12:15], 0 offen offset:1024// 000000005E54: E05C1400 808308CA
	v_mfma_f32_16x16x32_fp8_fp8 v[36:39], a[54:55], v[18:19], v[36:39]// 000000005E5C: D3F30024 0C922536
	v_mfma_f32_16x16x32_fp8_fp8 v[40:43], a[56:57], v[12:13], 0// 000000005E64: D3F30028 0A021938
	v_mfma_f32_16x16x32_fp8_fp8 v[40:43], a[58:59], v[14:15], v[40:43]// 000000005E6C: D3F30028 0CA21D3A
	v_mfma_f32_16x16x32_fp8_fp8 v[40:43], a[60:61], v[16:17], v[40:43]// 000000005E74: D3F30028 0CA2213C
	buffer_load_dwordx4 a[12:15], v203, s[12:15], 0 offen offset:1024// 000000005E7C: E05C1400 80830CCB
	v_mfma_f32_16x16x32_fp8_fp8 v[40:43], a[62:63], v[18:19], v[40:43]// 000000005E84: D3F30028 0CA2253E
	v_mfma_f32_16x16x32_fp8_fp8 v[44:47], a[32:33], v[20:21], 0// 000000005E8C: D3F3002C 0A022920
	v_mfma_f32_16x16x32_fp8_fp8 v[44:47], a[34:35], v[22:23], v[44:47]// 000000005E94: D3F3002C 0CB22D22
	v_mfma_f32_16x16x32_fp8_fp8 v[44:47], a[36:37], v[24:25], v[44:47]// 000000005E9C: D3F3002C 0CB23124
	buffer_load_dwordx4 a[16:19], v202, s[12:15], 0 offen offset:2048// 000000005EA4: E05C1800 808310CA
	v_mfma_f32_16x16x32_fp8_fp8 v[44:47], a[38:39], v[26:27], v[44:47]// 000000005EAC: D3F3002C 0CB23526
	v_mfma_f32_16x16x32_fp8_fp8 v[48:51], a[40:41], v[20:21], 0// 000000005EB4: D3F30030 0A022928
	v_mfma_f32_16x16x32_fp8_fp8 v[48:51], a[42:43], v[22:23], v[48:51]// 000000005EBC: D3F30030 0CC22D2A
	v_mfma_f32_16x16x32_fp8_fp8 v[48:51], a[44:45], v[24:25], v[48:51]// 000000005EC4: D3F30030 0CC2312C
	buffer_load_dwordx4 a[20:23], v203, s[12:15], 0 offen offset:2048// 000000005ECC: E05C1800 808314CB
	v_mfma_f32_16x16x32_fp8_fp8 v[48:51], a[46:47], v[26:27], v[48:51]// 000000005ED4: D3F30030 0CC2352E
	v_mfma_f32_16x16x32_fp8_fp8 v[52:55], a[48:49], v[20:21], 0// 000000005EDC: D3F30034 0A022930
	v_mfma_f32_16x16x32_fp8_fp8 v[52:55], a[50:51], v[22:23], v[52:55]// 000000005EE4: D3F30034 0CD22D32
	v_mfma_f32_16x16x32_fp8_fp8 v[52:55], a[52:53], v[24:25], v[52:55]// 000000005EEC: D3F30034 0CD23134
	buffer_load_dwordx4 a[24:27], v202, s[12:15], 0 offen offset:3072// 000000005EF4: E05C1C00 808318CA
	v_mfma_f32_16x16x32_fp8_fp8 v[52:55], a[54:55], v[26:27], v[52:55]// 000000005EFC: D3F30034 0CD23536
	v_mfma_f32_16x16x32_fp8_fp8 v[56:59], a[56:57], v[20:21], 0// 000000005F04: D3F30038 0A022938
	v_mfma_f32_16x16x32_fp8_fp8 v[56:59], a[58:59], v[22:23], v[56:59]// 000000005F0C: D3F30038 0CE22D3A
	v_mfma_f32_16x16x32_fp8_fp8 v[56:59], a[60:61], v[24:25], v[56:59]// 000000005F14: D3F30038 0CE2313C
	buffer_load_dwordx4 a[28:31], v203, s[12:15], 0 offen offset:3072// 000000005F1C: E05C1C00 80831CCB
	v_mfma_f32_16x16x32_fp8_fp8 v[56:59], a[62:63], v[26:27], v[56:59]// 000000005F24: D3F30038 0CE2353E
	s_waitcnt vmcnt(16)                                        // 000000005F2C: BF8C4F70
	v_pk_mul_f32 v[28:29], v[124:125], v[28:29]                // 000000005F30: D3B1401C 1802397C
	v_pk_mul_f32 v[30:31], v[124:125], v[30:31]                // 000000005F38: D3B1401E 18023D7C
	v_mul_f32_dpp v28, v129, v28 row_newbcast:0 row_mask:0xf bank_mask:0xf// 000000005F40: 0A3838FA FF015081
	v_mul_f32_dpp v29, v129, v29 row_newbcast:1 row_mask:0xf bank_mask:0xf// 000000005F48: 0A3A3AFA FF015181
	v_mul_f32_dpp v30, v129, v30 row_newbcast:2 row_mask:0xf bank_mask:0xf// 000000005F50: 0A3C3CFA FF015281
	v_mul_f32_dpp v31, v129, v31 row_newbcast:3 row_mask:0xf bank_mask:0xf// 000000005F58: 0A3E3EFA FF015381
	v_pk_mul_f32 v[32:33], v[124:125], v[32:33]                // 000000005F60: D3B14020 1802417C
	v_pk_mul_f32 v[34:35], v[124:125], v[34:35]                // 000000005F68: D3B14022 1802457C
	v_mul_f32_dpp v32, v129, v32 row_newbcast:4 row_mask:0xf bank_mask:0xf// 000000005F70: 0A4040FA FF015481
	v_mul_f32_dpp v33, v129, v33 row_newbcast:5 row_mask:0xf bank_mask:0xf// 000000005F78: 0A4242FA FF015581
	v_mul_f32_dpp v34, v129, v34 row_newbcast:6 row_mask:0xf bank_mask:0xf// 000000005F80: 0A4444FA FF015681
	v_mul_f32_dpp v35, v129, v35 row_newbcast:7 row_mask:0xf bank_mask:0xf// 000000005F88: 0A4646FA FF015781
	v_pk_mul_f32 v[36:37], v[124:125], v[36:37]                // 000000005F90: D3B14024 1802497C
	v_pk_mul_f32 v[38:39], v[124:125], v[38:39]                // 000000005F98: D3B14026 18024D7C
	v_mul_f32_dpp v36, v129, v36 row_newbcast:8 row_mask:0xf bank_mask:0xf// 000000005FA0: 0A4848FA FF015881
	v_mul_f32_dpp v37, v129, v37 row_newbcast:9 row_mask:0xf bank_mask:0xf// 000000005FA8: 0A4A4AFA FF015981
	v_mul_f32_dpp v38, v129, v38 row_newbcast:10 row_mask:0xf bank_mask:0xf// 000000005FB0: 0A4C4CFA FF015A81
	v_mul_f32_dpp v39, v129, v39 row_newbcast:11 row_mask:0xf bank_mask:0xf// 000000005FB8: 0A4E4EFA FF015B81
	v_pk_mul_f32 v[40:41], v[124:125], v[40:41]                // 000000005FC0: D3B14028 1802517C
	v_pk_mul_f32 v[42:43], v[124:125], v[42:43]                // 000000005FC8: D3B1402A 1802557C
	v_mul_f32_dpp v40, v129, v40 row_newbcast:12 row_mask:0xf bank_mask:0xf// 000000005FD0: 0A5050FA FF015C81
	v_mul_f32_dpp v41, v129, v41 row_newbcast:13 row_mask:0xf bank_mask:0xf// 000000005FD8: 0A5252FA FF015D81
	v_mul_f32_dpp v42, v129, v42 row_newbcast:14 row_mask:0xf bank_mask:0xf// 000000005FE0: 0A5454FA FF015E81
	v_mul_f32_dpp v43, v129, v43 row_newbcast:15 row_mask:0xf bank_mask:0xf// 000000005FE8: 0A5656FA FF015F81
	v_pk_mul_f32 v[44:45], v[126:127], v[44:45]                // 000000005FF0: D3B1402C 1802597E
	v_pk_mul_f32 v[46:47], v[126:127], v[46:47]                // 000000005FF8: D3B1402E 18025D7E
	v_mul_f32_dpp v44, v129, v44 row_newbcast:0 row_mask:0xf bank_mask:0xf// 000000006000: 0A5858FA FF015081
	v_mul_f32_dpp v45, v129, v45 row_newbcast:1 row_mask:0xf bank_mask:0xf// 000000006008: 0A5A5AFA FF015181
	v_mul_f32_dpp v46, v129, v46 row_newbcast:2 row_mask:0xf bank_mask:0xf// 000000006010: 0A5C5CFA FF015281
	v_mul_f32_dpp v47, v129, v47 row_newbcast:3 row_mask:0xf bank_mask:0xf// 000000006018: 0A5E5EFA FF015381
	v_pk_mul_f32 v[48:49], v[126:127], v[48:49]                // 000000006020: D3B14030 1802617E
	v_pk_mul_f32 v[50:51], v[126:127], v[50:51]                // 000000006028: D3B14032 1802657E
	v_mul_f32_dpp v48, v129, v48 row_newbcast:4 row_mask:0xf bank_mask:0xf// 000000006030: 0A6060FA FF015481
	v_mul_f32_dpp v49, v129, v49 row_newbcast:5 row_mask:0xf bank_mask:0xf// 000000006038: 0A6262FA FF015581
	v_mul_f32_dpp v50, v129, v50 row_newbcast:6 row_mask:0xf bank_mask:0xf// 000000006040: 0A6464FA FF015681
	v_mul_f32_dpp v51, v129, v51 row_newbcast:7 row_mask:0xf bank_mask:0xf// 000000006048: 0A6666FA FF015781
	v_pk_mul_f32 v[52:53], v[126:127], v[52:53]                // 000000006050: D3B14034 1802697E
	v_pk_mul_f32 v[54:55], v[126:127], v[54:55]                // 000000006058: D3B14036 18026D7E
	v_mul_f32_dpp v52, v129, v52 row_newbcast:8 row_mask:0xf bank_mask:0xf// 000000006060: 0A6868FA FF015881
	v_mul_f32_dpp v53, v129, v53 row_newbcast:9 row_mask:0xf bank_mask:0xf// 000000006068: 0A6A6AFA FF015981
	v_mul_f32_dpp v54, v129, v54 row_newbcast:10 row_mask:0xf bank_mask:0xf// 000000006070: 0A6C6CFA FF015A81
	v_mul_f32_dpp v55, v129, v55 row_newbcast:11 row_mask:0xf bank_mask:0xf// 000000006078: 0A6E6EFA FF015B81
	v_pk_mul_f32 v[56:57], v[126:127], v[56:57]                // 000000006080: D3B14038 1802717E
	v_pk_mul_f32 v[58:59], v[126:127], v[58:59]                // 000000006088: D3B1403A 1802757E
	v_mul_f32_dpp v56, v129, v56 row_newbcast:12 row_mask:0xf bank_mask:0xf// 000000006090: 0A7070FA FF015C81
	v_mul_f32_dpp v57, v129, v57 row_newbcast:13 row_mask:0xf bank_mask:0xf// 000000006098: 0A7272FA FF015D81
	v_mul_f32_dpp v58, v129, v58 row_newbcast:14 row_mask:0xf bank_mask:0xf// 0000000060A0: 0A7474FA FF015E81
	v_mul_f32_dpp v59, v129, v59 row_newbcast:15 row_mask:0xf bank_mask:0xf// 0000000060A8: 0A7676FA FF015F81
	v_mov_b32_e32 v150, v28                                    // 0000000060B0: 7F2C031C
	v_max3_f32 v150, v28, v29, v150                            // 0000000060B4: D1D30096 065A3B1C
	v_max3_f32 v150, v30, v31, v150                            // 0000000060BC: D1D30096 065A3F1E
	v_max3_f32 v150, v32, v33, v150                            // 0000000060C4: D1D30096 065A4320
	v_max3_f32 v150, v34, v35, v150                            // 0000000060CC: D1D30096 065A4722
	v_max3_f32 v150, v36, v37, v150                            // 0000000060D4: D1D30096 065A4B24
	v_max3_f32 v150, v38, v39, v150                            // 0000000060DC: D1D30096 065A4F26
	v_max3_f32 v150, v40, v41, v150                            // 0000000060E4: D1D30096 065A5328
	v_max3_f32 v150, v42, v43, v150                            // 0000000060EC: D1D30096 065A572A
	v_mov_b32_e32 v151, v44                                    // 0000000060F4: 7F2E032C
	v_max3_f32 v151, v44, v45, v151                            // 0000000060F8: D1D30097 065E5B2C
	v_max3_f32 v151, v46, v47, v151                            // 000000006100: D1D30097 065E5F2E
	v_max3_f32 v151, v48, v49, v151                            // 000000006108: D1D30097 065E6330
	v_max3_f32 v151, v50, v51, v151                            // 000000006110: D1D30097 065E6732
	v_max3_f32 v151, v52, v53, v151                            // 000000006118: D1D30097 065E6B34
	v_max3_f32 v151, v54, v55, v151                            // 000000006120: D1D30097 065E6F36
	v_max3_f32 v151, v56, v57, v151                            // 000000006128: D1D30097 065E7338
	v_max3_f32 v151, v58, v59, v151                            // 000000006130: D1D30097 065E773A
	ds_write_b64 v220, v[150:151]                              // 000000006138: D89A0000 000096DC
	v_pk_mul_f32 v[108:109], v[142:143], v[108:109]            // 000000006140: D3B1406C 1802D98E
	v_pk_mul_f32 v[110:111], v[142:143], v[110:111]            // 000000006148: D3B1406E 1802DD8E
	v_pk_mul_f32 v[112:113], v[142:143], v[112:113]            // 000000006150: D3B14070 1802E18E
	v_pk_mul_f32 v[114:115], v[142:143], v[114:115]            // 000000006158: D3B14072 1802E58E
	v_pk_mul_f32 v[116:117], v[144:145], v[116:117]            // 000000006160: D3B14074 1802E990
	v_pk_mul_f32 v[118:119], v[144:145], v[118:119]            // 000000006168: D3B14076 1802ED90
	v_pk_mul_f32 v[120:121], v[144:145], v[120:121]            // 000000006170: D3B14078 1802F190
	v_pk_mul_f32 v[122:123], v[144:145], v[122:123]            // 000000006178: D3B1407A 1802F590
	s_waitcnt lgkmcnt(0)                                       // 000000006180: BF8CC07F
	s_barrier                                                  // 000000006184: BF8A0000
	ds_read_b64 v[154:155], v221                               // 000000006188: D8EC0000 9A0000DD
	ds_read_b64 v[156:157], v221 offset:128                    // 000000006190: D8EC0080 9C0000DD
	ds_read_b64 v[158:159], v221 offset:256                    // 000000006198: D8EC0100 9E0000DD
	ds_read_b64 v[160:161], v221 offset:384                    // 0000000061A0: D8EC0180 A00000DD
	ds_read_b64 v[162:163], v221 offset:512                    // 0000000061A8: D8EC0200 A20000DD
	ds_read_b64 v[164:165], v221 offset:640                    // 0000000061B0: D8EC0280 A40000DD
	ds_read_b64 v[166:167], v221 offset:768                    // 0000000061B8: D8EC0300 A60000DD
	ds_read_b64 v[168:169], v221 offset:896                    // 0000000061C0: D8EC0380 A80000DD
	ds_read_b64 v[170:171], v221 offset:1024                   // 0000000061C8: D8EC0400 AA0000DD
	ds_read_b64 v[172:173], v221 offset:1152                   // 0000000061D0: D8EC0480 AC0000DD
	ds_read_b64 v[174:175], v221 offset:1280                   // 0000000061D8: D8EC0500 AE0000DD
	ds_read_b64 v[176:177], v221 offset:1408                   // 0000000061E0: D8EC0580 B00000DD
	ds_read_b64 v[178:179], v221 offset:1536                   // 0000000061E8: D8EC0600 B20000DD
	ds_read_b64 v[180:181], v221 offset:1664                   // 0000000061F0: D8EC0680 B40000DD
	ds_read_b64 v[182:183], v221 offset:1792                   // 0000000061F8: D8EC0700 B60000DD
	ds_read_b64 v[184:185], v221 offset:1920                   // 000000006200: D8EC0780 B80000DD
	v_pk_mul_f32 v[92:93], v[132:133], v[92:93]                // 000000006208: D3B1405C 1802B984
	v_pk_mul_f32 v[94:95], v[132:133], v[94:95]                // 000000006210: D3B1405E 1802BD84
	v_pk_mul_f32 v[96:97], v[132:133], v[96:97]                // 000000006218: D3B14060 1802C184
	v_pk_mul_f32 v[98:99], v[132:133], v[98:99]                // 000000006220: D3B14062 1802C584
	v_pk_mul_f32 v[100:101], v[134:135], v[100:101]            // 000000006228: D3B14064 1802C986
	v_pk_mul_f32 v[102:103], v[134:135], v[102:103]            // 000000006230: D3B14066 1802CD86
	v_pk_mul_f32 v[104:105], v[134:135], v[104:105]            // 000000006238: D3B14068 1802D186
	v_pk_mul_f32 v[106:107], v[134:135], v[106:107]            // 000000006240: D3B1406A 1802D586
	s_waitcnt lgkmcnt(0)                                       // 000000006248: BF8CC07F
	v_max3_f32 v150, v154, v156, v150                          // 00000000624C: D1D30096 065B399A
	v_max3_f32 v151, v155, v157, v151                          // 000000006254: D1D30097 065F3B9B
	v_max3_f32 v150, v158, v160, v150                          // 00000000625C: D1D30096 065B419E
	v_max3_f32 v151, v159, v161, v151                          // 000000006264: D1D30097 065F439F
	v_max3_f32 v150, v162, v164, v150                          // 00000000626C: D1D30096 065B49A2
	v_max3_f32 v151, v163, v165, v151                          // 000000006274: D1D30097 065F4BA3
	v_max3_f32 v150, v166, v168, v150                          // 00000000627C: D1D30096 065B51A6
	v_max3_f32 v151, v167, v169, v151                          // 000000006284: D1D30097 065F53A7
	v_max3_f32 v150, v170, v172, v150                          // 00000000628C: D1D30096 065B59AA
	v_max3_f32 v151, v171, v173, v151                          // 000000006294: D1D30097 065F5BAB
	v_max3_f32 v150, v174, v176, v150                          // 00000000629C: D1D30096 065B61AE
	v_max3_f32 v151, v175, v177, v151                          // 0000000062A4: D1D30097 065F63AF
	v_max3_f32 v150, v178, v180, v150                          // 0000000062AC: D1D30096 065B69B2
	v_max3_f32 v151, v179, v181, v151                          // 0000000062B4: D1D30097 065F6BB3
	v_max3_f32 v150, v182, v184, v150                          // 0000000062BC: D1D30096 065B71B6
	v_max3_f32 v151, v183, v185, v151                          // 0000000062C4: D1D30097 065F73B7
	v_max_f32_e32 v140, v150, v138                             // 0000000062CC: 17191596
	v_mul_f32_e64 v186, -s46, v140                             // 0000000062D0: D10500BA 2003182E
	v_mov_b32_e32 v187, v186                                   // 0000000062D8: 7F7603BA
	v_pk_fma_f32 v[28:29], v[28:29], s[46:47], v[186:187]      // 0000000062DC: D3B0401C 1EE85D1C
	v_pk_fma_f32 v[30:31], v[30:31], s[46:47], v[186:187]      // 0000000062E4: D3B0401E 1EE85D1E
	v_exp_f32_e32 v28, v28                                     // 0000000062EC: 7E38411C
	v_exp_f32_e32 v29, v29                                     // 0000000062F0: 7E3A411D
	v_exp_f32_e32 v30, v30                                     // 0000000062F4: 7E3C411E
	v_exp_f32_e32 v31, v31                                     // 0000000062F8: 7E3E411F
	v_pk_fma_f32 v[32:33], v[32:33], s[46:47], v[186:187]      // 0000000062FC: D3B04020 1EE85D20
	v_pk_fma_f32 v[34:35], v[34:35], s[46:47], v[186:187]      // 000000006304: D3B04022 1EE85D22
	v_exp_f32_e32 v32, v32                                     // 00000000630C: 7E404120
	v_exp_f32_e32 v33, v33                                     // 000000006310: 7E424121
	v_exp_f32_e32 v34, v34                                     // 000000006314: 7E444122
	v_exp_f32_e32 v35, v35                                     // 000000006318: 7E464123
	v_pk_fma_f32 v[36:37], v[36:37], s[46:47], v[186:187]      // 00000000631C: D3B04024 1EE85D24
	v_pk_fma_f32 v[38:39], v[38:39], s[46:47], v[186:187]      // 000000006324: D3B04026 1EE85D26
	v_exp_f32_e32 v36, v36                                     // 00000000632C: 7E484124
	v_exp_f32_e32 v37, v37                                     // 000000006330: 7E4A4125
	v_exp_f32_e32 v38, v38                                     // 000000006334: 7E4C4126
	v_exp_f32_e32 v39, v39                                     // 000000006338: 7E4E4127
	v_pk_fma_f32 v[40:41], v[40:41], s[46:47], v[186:187]      // 00000000633C: D3B04028 1EE85D28
	v_pk_fma_f32 v[42:43], v[42:43], s[46:47], v[186:187]      // 000000006344: D3B0402A 1EE85D2A
	v_exp_f32_e32 v40, v40                                     // 00000000634C: 7E504128
	v_exp_f32_e32 v41, v41                                     // 000000006350: 7E524129
	v_exp_f32_e32 v42, v42                                     // 000000006354: 7E54412A
	v_exp_f32_e32 v43, v43                                     // 000000006358: 7E56412B
	v_max_f32_e32 v141, v151, v139                             // 00000000635C: 171B1797
	v_mul_f32_e64 v186, -s46, v141                             // 000000006360: D10500BA 20031A2E
	v_mov_b32_e32 v187, v186                                   // 000000006368: 7F7603BA
	v_pk_fma_f32 v[44:45], v[44:45], s[46:47], v[186:187]      // 00000000636C: D3B0402C 1EE85D2C
	v_pk_fma_f32 v[46:47], v[46:47], s[46:47], v[186:187]      // 000000006374: D3B0402E 1EE85D2E
	v_exp_f32_e32 v44, v44                                     // 00000000637C: 7E58412C
	v_exp_f32_e32 v45, v45                                     // 000000006380: 7E5A412D
	v_exp_f32_e32 v46, v46                                     // 000000006384: 7E5C412E
	v_exp_f32_e32 v47, v47                                     // 000000006388: 7E5E412F
	v_pk_fma_f32 v[48:49], v[48:49], s[46:47], v[186:187]      // 00000000638C: D3B04030 1EE85D30
	v_pk_fma_f32 v[50:51], v[50:51], s[46:47], v[186:187]      // 000000006394: D3B04032 1EE85D32
	v_exp_f32_e32 v48, v48                                     // 00000000639C: 7E604130
	v_exp_f32_e32 v49, v49                                     // 0000000063A0: 7E624131
	v_exp_f32_e32 v50, v50                                     // 0000000063A4: 7E644132
	v_exp_f32_e32 v51, v51                                     // 0000000063A8: 7E664133
	v_pk_fma_f32 v[52:53], v[52:53], s[46:47], v[186:187]      // 0000000063AC: D3B04034 1EE85D34
	v_pk_fma_f32 v[54:55], v[54:55], s[46:47], v[186:187]      // 0000000063B4: D3B04036 1EE85D36
	v_exp_f32_e32 v52, v52                                     // 0000000063BC: 7E684134
	v_exp_f32_e32 v53, v53                                     // 0000000063C0: 7E6A4135
	v_exp_f32_e32 v54, v54                                     // 0000000063C4: 7E6C4136
	v_exp_f32_e32 v55, v55                                     // 0000000063C8: 7E6E4137
	v_pk_fma_f32 v[56:57], v[56:57], s[46:47], v[186:187]      // 0000000063CC: D3B04038 1EE85D38
	v_pk_fma_f32 v[58:59], v[58:59], s[46:47], v[186:187]      // 0000000063D4: D3B0403A 1EE85D3A
	v_exp_f32_e32 v56, v56                                     // 0000000063DC: 7E704138
	v_exp_f32_e32 v57, v57                                     // 0000000063E0: 7E724139
	v_exp_f32_e32 v58, v58                                     // 0000000063E4: 7E74413A
	v_exp_f32_e32 v59, v59                                     // 0000000063E8: 7E76413B
	v_mul_f32_dpp v60, v131, v28 row_newbcast:0 row_mask:0xf bank_mask:0xf// 0000000063EC: 0A7838FA FF015083
	v_mul_f32_dpp v61, v131, v29 row_newbcast:1 row_mask:0xf bank_mask:0xf// 0000000063F4: 0A7A3AFA FF015183
	v_mul_f32_dpp v62, v131, v30 row_newbcast:2 row_mask:0xf bank_mask:0xf// 0000000063FC: 0A7C3CFA FF015283
	v_mul_f32_dpp v63, v131, v31 row_newbcast:3 row_mask:0xf bank_mask:0xf// 000000006404: 0A7E3EFA FF015383
	v_mul_f32_dpp v64, v131, v32 row_newbcast:4 row_mask:0xf bank_mask:0xf// 00000000640C: 0A8040FA FF015483
	v_mul_f32_dpp v65, v131, v33 row_newbcast:5 row_mask:0xf bank_mask:0xf// 000000006414: 0A8242FA FF015583
	v_mul_f32_dpp v66, v131, v34 row_newbcast:6 row_mask:0xf bank_mask:0xf// 00000000641C: 0A8444FA FF015683
	v_mul_f32_dpp v67, v131, v35 row_newbcast:7 row_mask:0xf bank_mask:0xf// 000000006424: 0A8646FA FF015783
	v_mul_f32_dpp v68, v131, v36 row_newbcast:8 row_mask:0xf bank_mask:0xf// 00000000642C: 0A8848FA FF015883
	v_mul_f32_dpp v69, v131, v37 row_newbcast:9 row_mask:0xf bank_mask:0xf// 000000006434: 0A8A4AFA FF015983
	v_mul_f32_dpp v70, v131, v38 row_newbcast:10 row_mask:0xf bank_mask:0xf// 00000000643C: 0A8C4CFA FF015A83
	v_mul_f32_dpp v71, v131, v39 row_newbcast:11 row_mask:0xf bank_mask:0xf// 000000006444: 0A8E4EFA FF015B83
	v_mul_f32_dpp v72, v131, v40 row_newbcast:12 row_mask:0xf bank_mask:0xf// 00000000644C: 0A9050FA FF015C83
	v_mul_f32_dpp v73, v131, v41 row_newbcast:13 row_mask:0xf bank_mask:0xf// 000000006454: 0A9252FA FF015D83
	v_mul_f32_dpp v74, v131, v42 row_newbcast:14 row_mask:0xf bank_mask:0xf// 00000000645C: 0A9454FA FF015E83
	v_mul_f32_dpp v75, v131, v43 row_newbcast:15 row_mask:0xf bank_mask:0xf// 000000006464: 0A9656FA FF015F83
	v_mul_f32_dpp v76, v131, v44 row_newbcast:0 row_mask:0xf bank_mask:0xf// 00000000646C: 0A9858FA FF015083
	v_mul_f32_dpp v77, v131, v45 row_newbcast:1 row_mask:0xf bank_mask:0xf// 000000006474: 0A9A5AFA FF015183
	v_mul_f32_dpp v78, v131, v46 row_newbcast:2 row_mask:0xf bank_mask:0xf// 00000000647C: 0A9C5CFA FF015283
	v_mul_f32_dpp v79, v131, v47 row_newbcast:3 row_mask:0xf bank_mask:0xf// 000000006484: 0A9E5EFA FF015383
	v_mul_f32_dpp v80, v131, v48 row_newbcast:4 row_mask:0xf bank_mask:0xf// 00000000648C: 0AA060FA FF015483
	v_mul_f32_dpp v81, v131, v49 row_newbcast:5 row_mask:0xf bank_mask:0xf// 000000006494: 0AA262FA FF015583
	v_mul_f32_dpp v82, v131, v50 row_newbcast:6 row_mask:0xf bank_mask:0xf// 00000000649C: 0AA464FA FF015683
	v_mul_f32_dpp v83, v131, v51 row_newbcast:7 row_mask:0xf bank_mask:0xf// 0000000064A4: 0AA666FA FF015783
	v_mul_f32_dpp v84, v131, v52 row_newbcast:8 row_mask:0xf bank_mask:0xf// 0000000064AC: 0AA868FA FF015883
	v_mul_f32_dpp v85, v131, v53 row_newbcast:9 row_mask:0xf bank_mask:0xf// 0000000064B4: 0AAA6AFA FF015983
	v_mul_f32_dpp v86, v131, v54 row_newbcast:10 row_mask:0xf bank_mask:0xf// 0000000064BC: 0AAC6CFA FF015A83
	v_mul_f32_dpp v87, v131, v55 row_newbcast:11 row_mask:0xf bank_mask:0xf// 0000000064C4: 0AAE6EFA FF015B83
	v_mul_f32_dpp v88, v131, v56 row_newbcast:12 row_mask:0xf bank_mask:0xf// 0000000064CC: 0AB070FA FF015C83
	v_mul_f32_dpp v89, v131, v57 row_newbcast:13 row_mask:0xf bank_mask:0xf// 0000000064D4: 0AB272FA FF015D83
	v_mul_f32_dpp v90, v131, v58 row_newbcast:14 row_mask:0xf bank_mask:0xf// 0000000064DC: 0AB474FA FF015E83
	v_mul_f32_dpp v91, v131, v59 row_newbcast:15 row_mask:0xf bank_mask:0xf// 0000000064E4: 0AB676FA FF015F83
	v_mov_b32_e32 v150, 0x358637bd                             // 0000000064EC: 7F2C02FF 358637BD
	v_max3_f32 v150, |v60|, |v61|, v150                        // 0000000064F4: D1D30396 065A7B3C
	v_max3_f32 v150, |v62|, |v63|, v150                        // 0000000064FC: D1D30396 065A7F3E
	v_max3_f32 v150, |v64|, |v65|, v150                        // 000000006504: D1D30396 065A8340
	v_max3_f32 v150, |v66|, |v67|, v150                        // 00000000650C: D1D30396 065A8742
	v_max3_f32 v150, |v68|, |v69|, v150                        // 000000006514: D1D30396 065A8B44
	v_max3_f32 v150, |v70|, |v71|, v150                        // 00000000651C: D1D30396 065A8F46
	v_max3_f32 v150, |v72|, |v73|, v150                        // 000000006524: D1D30396 065A9348
	v_max3_f32 v150, |v74|, |v75|, v150                        // 00000000652C: D1D30396 065A974A
	v_mov_b32_e32 v151, 0x358637bd                             // 000000006534: 7F2E02FF 358637BD
	v_max3_f32 v151, |v76|, |v77|, v151                        // 00000000653C: D1D30397 065E9B4C
	v_max3_f32 v151, |v78|, |v79|, v151                        // 000000006544: D1D30397 065E9F4E
	v_max3_f32 v151, |v80|, |v81|, v151                        // 00000000654C: D1D30397 065EA350
	v_max3_f32 v151, |v82|, |v83|, v151                        // 000000006554: D1D30397 065EA752
	v_max3_f32 v151, |v84|, |v85|, v151                        // 00000000655C: D1D30397 065EAB54
	v_max3_f32 v151, |v86|, |v87|, v151                        // 000000006564: D1D30397 065EAF56
	v_max3_f32 v151, |v88|, |v89|, v151                        // 00000000656C: D1D30397 065EB358
	v_max3_f32 v151, |v90|, |v91|, v151                        // 000000006574: D1D30397 065EB75A
	ds_write_b64 v220, v[150:151] offset:2304                  // 00000000657C: D89A0900 000096DC
	buffer_load_dword v128, v208, s[20:23], 0 offen            // 000000006584: E0501000 800580D0
	v_sub_f32_e32 v142, v138, v140                             // 00000000658C: 051D198A
	v_cmp_eq_u32_e64 s[98:99], v197, v138                      // 000000006590: D0CA0062 000315C5
	v_cndmask_b32_e64 v142, v142, 0, s[98:99]                  // 000000006598: D100008E 0189018E
	v_mov_b32_e32 v138, v140                                   // 0000000065A0: 7F14038C
	v_mul_f32_e32 v142, s46, v142                              // 0000000065A4: 0B1D1C2E
	v_exp_f32_e32 v142, v142                                   // 0000000065A8: 7F1C418E
	v_sub_f32_e32 v144, v139, v141                             // 0000000065AC: 05211B8B
	v_cmp_eq_u32_e64 s[98:99], v197, v139                      // 0000000065B0: D0CA0062 000317C5
	v_cndmask_b32_e64 v144, v144, 0, s[98:99]                  // 0000000065B8: D1000090 01890190
	v_mov_b32_e32 v139, v141                                   // 0000000065C0: 7F16038D
	v_mul_f32_e32 v144, s46, v144                              // 0000000065C4: 0B21202E
	v_exp_f32_e32 v144, v144                                   // 0000000065C8: 7F204190
	v_mov_b32_e32 v143, v142                                   // 0000000065CC: 7F1E038E
	v_mov_b32_e32 v145, v144                                   // 0000000065D0: 7F220390
	buffer_load_dword v130, v209, s[24:27], 0 offen            // 0000000065D4: E0501000 800682D1
	s_waitcnt lgkmcnt(0)                                       // 0000000065DC: BF8CC07F
	s_barrier                                                  // 0000000065E0: BF8A0000
	ds_read_b64 v[154:155], v221 offset:2304                   // 0000000065E4: D8EC0900 9A0000DD
	ds_read_b64 v[156:157], v221 offset:2432                   // 0000000065EC: D8EC0980 9C0000DD
	ds_read_b64 v[158:159], v221 offset:2560                   // 0000000065F4: D8EC0A00 9E0000DD
	ds_read_b64 v[160:161], v221 offset:2688                   // 0000000065FC: D8EC0A80 A00000DD
	ds_read_b64 v[162:163], v221 offset:2816                   // 000000006604: D8EC0B00 A20000DD
	ds_read_b64 v[164:165], v221 offset:2944                   // 00000000660C: D8EC0B80 A40000DD
	ds_read_b64 v[166:167], v221 offset:3072                   // 000000006614: D8EC0C00 A60000DD
	ds_read_b64 v[168:169], v221 offset:3200                   // 00000000661C: D8EC0C80 A80000DD
	ds_read_b64 v[170:171], v221 offset:3328                   // 000000006624: D8EC0D00 AA0000DD
	ds_read_b64 v[172:173], v221 offset:3456                   // 00000000662C: D8EC0D80 AC0000DD
	ds_read_b64 v[174:175], v221 offset:3584                   // 000000006634: D8EC0E00 AE0000DD
	ds_read_b64 v[176:177], v221 offset:3712                   // 00000000663C: D8EC0E80 B00000DD
	ds_read_b64 v[178:179], v221 offset:3840                   // 000000006644: D8EC0F00 B20000DD
	ds_read_b64 v[180:181], v221 offset:3968                   // 00000000664C: D8EC0F80 B40000DD
	ds_read_b64 v[182:183], v221 offset:4096                   // 000000006654: D8EC1000 B60000DD
	ds_read_b64 v[184:185], v221 offset:4224                   // 00000000665C: D8EC1080 B80000DD
	v_mul_f32_e32 v146, v142, v146                             // 000000006664: 0B25258E
	v_mov_b32_e32 v147, 0                                      // 000000006668: 7F260280
	v_pk_add_f32 v[146:147], v[28:29], v[146:147]              // 00000000666C: D3B24092 1803251C
	v_pk_add_f32 v[146:147], v[30:31], v[146:147]              // 000000006674: D3B24092 1803251E
	v_pk_add_f32 v[146:147], v[32:33], v[146:147]              // 00000000667C: D3B24092 18032520
	v_pk_add_f32 v[146:147], v[34:35], v[146:147]              // 000000006684: D3B24092 18032522
	v_pk_add_f32 v[146:147], v[36:37], v[146:147]              // 00000000668C: D3B24092 18032524
	v_pk_add_f32 v[146:147], v[38:39], v[146:147]              // 000000006694: D3B24092 18032526
	v_pk_add_f32 v[146:147], v[40:41], v[146:147]              // 00000000669C: D3B24092 18032528
	v_pk_add_f32 v[146:147], v[42:43], v[146:147]              // 0000000066A4: D3B24092 1803252A
	v_add_f32_e32 v146, v147, v146                             // 0000000066AC: 03252593
	v_mul_f32_e32 v148, v144, v148                             // 0000000066B0: 0B292990
	v_mov_b32_e32 v149, 0                                      // 0000000066B4: 7F2A0280
	v_pk_add_f32 v[148:149], v[44:45], v[148:149]              // 0000000066B8: D3B24094 1803292C
	v_pk_add_f32 v[148:149], v[46:47], v[148:149]              // 0000000066C0: D3B24094 1803292E
	v_pk_add_f32 v[148:149], v[48:49], v[148:149]              // 0000000066C8: D3B24094 18032930
	v_pk_add_f32 v[148:149], v[50:51], v[148:149]              // 0000000066D0: D3B24094 18032932
	v_pk_add_f32 v[148:149], v[52:53], v[148:149]              // 0000000066D8: D3B24094 18032934
	v_pk_add_f32 v[148:149], v[54:55], v[148:149]              // 0000000066E0: D3B24094 18032936
	v_pk_add_f32 v[148:149], v[56:57], v[148:149]              // 0000000066E8: D3B24094 18032938
	v_pk_add_f32 v[148:149], v[58:59], v[148:149]              // 0000000066F0: D3B24094 1803293A
	v_add_f32_e32 v148, v149, v148                             // 0000000066F8: 03292995
	s_waitcnt lgkmcnt(0)                                       // 0000000066FC: BF8CC07F
	v_max3_f32 v150, v154, v156, v150                          // 000000006700: D1D30096 065B399A
	v_max3_f32 v151, v155, v157, v151                          // 000000006708: D1D30097 065F3B9B
	v_max3_f32 v150, v158, v160, v150                          // 000000006710: D1D30096 065B419E
	v_max3_f32 v151, v159, v161, v151                          // 000000006718: D1D30097 065F439F
	v_max3_f32 v150, v162, v164, v150                          // 000000006720: D1D30096 065B49A2
	v_max3_f32 v151, v163, v165, v151                          // 000000006728: D1D30097 065F4BA3
	v_max3_f32 v150, v166, v168, v150                          // 000000006730: D1D30096 065B51A6
	v_max3_f32 v151, v167, v169, v151                          // 000000006738: D1D30097 065F53A7
	v_max3_f32 v150, v170, v172, v150                          // 000000006740: D1D30096 065B59AA
	v_max3_f32 v151, v171, v173, v151                          // 000000006748: D1D30097 065F5BAB
	v_max3_f32 v150, v174, v176, v150                          // 000000006750: D1D30096 065B61AE
	v_max3_f32 v151, v175, v177, v151                          // 000000006758: D1D30097 065F63AF
	v_max3_f32 v150, v178, v180, v150                          // 000000006760: D1D30096 065B69B2
	v_max3_f32 v151, v179, v181, v151                          // 000000006768: D1D30097 065F6BB3
	v_max3_f32 v150, v182, v184, v150                          // 000000006770: D1D30096 065B71B6
	v_max3_f32 v151, v183, v185, v151                          // 000000006778: D1D30097 065F73B7
	v_rcp_f32_e32 v150, v150                                   // 000000006780: 7F2C4596
	v_rcp_f32_e32 v151, v151                                   // 000000006784: 7F2E4597
	v_mul_f32_e32 v150, 0x43700000, v150                       // 000000006788: 0B2D2CFF 43700000
	v_mul_f32_e32 v151, 0x43700000, v151                       // 000000006790: 0B2F2EFF 43700000
	v_mov_b32_e32 v152, v151                                   // 000000006798: 7F300397
	v_mov_b32_e32 v153, v151                                   // 00000000679C: 7F320397
	v_mov_b32_e32 v151, v150                                   // 0000000067A0: 7F2E0396
	v_pk_mul_f32 v[28:29], v[150:151], v[60:61]                // 0000000067A4: D3B1401C 18027996
	v_pk_mul_f32 v[30:31], v[150:151], v[62:63]                // 0000000067AC: D3B1401E 18027D96
	v_pk_mul_f32 v[32:33], v[150:151], v[64:65]                // 0000000067B4: D3B14020 18028196
	v_pk_mul_f32 v[34:35], v[150:151], v[66:67]                // 0000000067BC: D3B14022 18028596
	v_pk_mul_f32 v[36:37], v[150:151], v[68:69]                // 0000000067C4: D3B14024 18028996
	v_pk_mul_f32 v[38:39], v[150:151], v[70:71]                // 0000000067CC: D3B14026 18028D96
	v_pk_mul_f32 v[40:41], v[150:151], v[72:73]                // 0000000067D4: D3B14028 18029196
	v_pk_mul_f32 v[42:43], v[150:151], v[74:75]                // 0000000067DC: D3B1402A 18029596
	v_pk_mul_f32 v[44:45], v[152:153], v[76:77]                // 0000000067E4: D3B1402C 18029998
	v_pk_mul_f32 v[46:47], v[152:153], v[78:79]                // 0000000067EC: D3B1402E 18029D98
	v_pk_mul_f32 v[48:49], v[152:153], v[80:81]                // 0000000067F4: D3B14030 1802A198
	v_pk_mul_f32 v[50:51], v[152:153], v[82:83]                // 0000000067FC: D3B14032 1802A598
	v_pk_mul_f32 v[52:53], v[152:153], v[84:85]                // 000000006804: D3B14034 1802A998
	v_pk_mul_f32 v[54:55], v[152:153], v[86:87]                // 00000000680C: D3B14036 1802AD98
	v_pk_mul_f32 v[56:57], v[152:153], v[88:89]                // 000000006814: D3B14038 1802B198
	v_pk_mul_f32 v[58:59], v[152:153], v[90:91]                // 00000000681C: D3B1403A 1802B598
	v_cvt_pk_fp8_f32 v28, v28, v29                             // 000000006824: D2A2001C 00023B1C
	v_cvt_pk_fp8_f32 v28, v30, v31 op_sel:[0,0,1]              // 00000000682C: D2A2401C 00023F1E
	v_cvt_pk_fp8_f32 v29, v32, v33                             // 000000006834: D2A2001D 00024320
	v_cvt_pk_fp8_f32 v29, v34, v35 op_sel:[0,0,1]              // 00000000683C: D2A2401D 00024722
	v_cvt_pk_fp8_f32 v30, v36, v37                             // 000000006844: D2A2001E 00024B24
	v_cvt_pk_fp8_f32 v30, v38, v39 op_sel:[0,0,1]              // 00000000684C: D2A2401E 00024F26
	v_cvt_pk_fp8_f32 v31, v40, v41                             // 000000006854: D2A2001F 00025328
	v_cvt_pk_fp8_f32 v31, v42, v43 op_sel:[0,0,1]              // 00000000685C: D2A2401F 0002572A
	v_cvt_pk_fp8_f32 v32, v44, v45                             // 000000006864: D2A20020 00025B2C
	v_cvt_pk_fp8_f32 v32, v46, v47 op_sel:[0,0,1]              // 00000000686C: D2A24020 00025F2E
	v_cvt_pk_fp8_f32 v33, v48, v49                             // 000000006874: D2A20021 00026330
	v_cvt_pk_fp8_f32 v33, v50, v51 op_sel:[0,0,1]              // 00000000687C: D2A24021 00026732
	v_cvt_pk_fp8_f32 v34, v52, v53                             // 000000006884: D2A20022 00026B34
	v_cvt_pk_fp8_f32 v34, v54, v55 op_sel:[0,0,1]              // 00000000688C: D2A24022 00026F36
	v_cvt_pk_fp8_f32 v35, v56, v57                             // 000000006894: D2A20023 00027338
	v_cvt_pk_fp8_f32 v35, v58, v59 op_sel:[0,0,1]              // 00000000689C: D2A24023 0002773A
	ds_write_b32 v222, v28 offset:4608                         // 0000000068A4: D81A1200 00001CDE
	ds_write_b32 v222, v29 offset:5632                         // 0000000068AC: D81A1600 00001DDE
	ds_write_b32 v222, v30 offset:6656                         // 0000000068B4: D81A1A00 00001EDE
	ds_write_b32 v222, v31 offset:7680                         // 0000000068BC: D81A1E00 00001FDE
	ds_write_b32 v222, v32 offset:8704                         // 0000000068C4: D81A2200 000020DE
	ds_write_b32 v222, v33 offset:9728                         // 0000000068CC: D81A2600 000021DE
	ds_write_b32 v222, v34 offset:10752                        // 0000000068D4: D81A2A00 000022DE
	ds_write_b32 v222, v35 offset:11776                        // 0000000068DC: D81A2E00 000023DE
	v_rcp_f32_e32 v132, v150                                   // 0000000068E4: 7F084596
	v_rcp_f32_e32 v134, v152                                   // 0000000068E8: 7F0C4598
	v_mov_b32_e32 v133, v132                                   // 0000000068EC: 7F0A0384
	v_mov_b32_e32 v135, v134                                   // 0000000068F0: 7F0E0386
	v_pk_add_f32 v[108:109], v[108:109], v[92:93]              // 0000000068F4: D3B2406C 1802B96C
	v_pk_add_f32 v[110:111], v[110:111], v[94:95]              // 0000000068FC: D3B2406E 1802BD6E
	v_pk_add_f32 v[112:113], v[112:113], v[96:97]              // 000000006904: D3B24070 1802C170
	v_pk_add_f32 v[114:115], v[114:115], v[98:99]              // 00000000690C: D3B24072 1802C572
	v_pk_add_f32 v[116:117], v[116:117], v[100:101]            // 000000006914: D3B24074 1802C974
	v_pk_add_f32 v[118:119], v[118:119], v[102:103]            // 00000000691C: D3B24076 1802CD76
	v_pk_add_f32 v[120:121], v[120:121], v[104:105]            // 000000006924: D3B24078 1802D178
	v_pk_add_f32 v[122:123], v[122:123], v[106:107]            // 00000000692C: D3B2407A 1802D57A
	s_waitcnt lgkmcnt(0)                                       // 000000006934: BF8CC07F
	s_barrier                                                  // 000000006938: BF8A0000
	ds_read_b128 v[28:31], v223 offset:4608                    // 00000000693C: D9FE1200 1C0000DF
	ds_read_b128 v[32:35], v223 offset:5632                    // 000000006944: D9FE1600 200000DF
	ds_read_b128 v[36:39], v223 offset:6656                    // 00000000694C: D9FE1A00 240000DF
	ds_read_b128 v[40:43], v223 offset:7680                    // 000000006954: D9FE1E00 280000DF
	ds_read_b128 v[44:47], v223 offset:8704                    // 00000000695C: D9FE2200 2C0000DF
	ds_read_b128 v[48:51], v223 offset:9728                    // 000000006964: D9FE2600 300000DF
	ds_read_b128 v[52:55], v223 offset:10752                   // 00000000696C: D9FE2A00 340000DF
	ds_read_b128 v[56:59], v223 offset:11776                   // 000000006974: D9FE2E00 380000DF
	s_waitcnt vmcnt(10)                                        // 00000000697C: BF8C0F7A
	s_waitcnt lgkmcnt(7)                                       // 000000006980: BF8CC77F
	v_mfma_f32_16x16x32_fp8_fp8 v[92:95], a[96:97], v[28:29], 0// 000000006984: D3F3005C 0A023960
	v_mfma_f32_16x16x32_fp8_fp8 v[96:99], a[112:113], v[28:29], 0// 00000000698C: D3F30060 0A023970
	v_mfma_f32_16x16x32_fp8_fp8 v[92:95], a[98:99], v[30:31], v[92:95]// 000000006994: D3F3005C 0D723D62
	buffer_load_dwordx4 a[64:67], v204, s[16:19], 0 offen      // 00000000699C: E05C1000 808440CC
	v_mfma_f32_16x16x32_fp8_fp8 v[96:99], a[114:115], v[30:31], v[96:99]// 0000000069A4: D3F30060 0D823D72
	s_waitcnt lgkmcnt(6)                                       // 0000000069AC: BF8CC67F
	v_mfma_f32_16x16x32_fp8_fp8 v[92:95], a[100:101], v[32:33], v[92:95]// 0000000069B0: D3F3005C 0D724164
	v_mfma_f32_16x16x32_fp8_fp8 v[96:99], a[116:117], v[32:33], v[96:99]// 0000000069B8: D3F30060 0D824174
	v_mfma_f32_16x16x32_fp8_fp8 v[92:95], a[102:103], v[34:35], v[92:95]// 0000000069C0: D3F3005C 0D724566
	buffer_load_dwordx4 a[68:71], v205, s[16:19], 0 offen      // 0000000069C8: E05C1000 808444CD
	v_mfma_f32_16x16x32_fp8_fp8 v[96:99], a[118:119], v[34:35], v[96:99]// 0000000069D0: D3F30060 0D824576
	s_waitcnt lgkmcnt(5)                                       // 0000000069D8: BF8CC57F
	v_mfma_f32_16x16x32_fp8_fp8 v[92:95], a[104:105], v[36:37], v[92:95]// 0000000069DC: D3F3005C 0D724968
	v_mfma_f32_16x16x32_fp8_fp8 v[96:99], a[120:121], v[36:37], v[96:99]// 0000000069E4: D3F30060 0D824978
	v_mfma_f32_16x16x32_fp8_fp8 v[92:95], a[106:107], v[38:39], v[92:95]// 0000000069EC: D3F3005C 0D724D6A
	buffer_load_dwordx4 a[72:75], v206, s[16:19], 0 offen      // 0000000069F4: E05C1000 808448CE
	v_mfma_f32_16x16x32_fp8_fp8 v[96:99], a[122:123], v[38:39], v[96:99]// 0000000069FC: D3F30060 0D824D7A
	s_waitcnt lgkmcnt(4)                                       // 000000006A04: BF8CC47F
	v_mfma_f32_16x16x32_fp8_fp8 v[92:95], a[108:109], v[40:41], v[92:95]// 000000006A08: D3F3005C 0D72516C
	v_mfma_f32_16x16x32_fp8_fp8 v[96:99], a[124:125], v[40:41], v[96:99]// 000000006A10: D3F30060 0D82517C
	v_mfma_f32_16x16x32_fp8_fp8 v[92:95], a[110:111], v[42:43], v[92:95]// 000000006A18: D3F3005C 0D72556E
	buffer_load_dwordx4 a[76:79], v207, s[16:19], 0 offen      // 000000006A20: E05C1000 80844CCF
	v_mfma_f32_16x16x32_fp8_fp8 v[96:99], a[126:127], v[42:43], v[96:99]// 000000006A28: D3F30060 0D82557E
	s_waitcnt lgkmcnt(3)                                       // 000000006A30: BF8CC37F
	v_mfma_f32_16x16x32_fp8_fp8 v[100:103], a[96:97], v[44:45], 0// 000000006A34: D3F30064 0A025960
	v_mfma_f32_16x16x32_fp8_fp8 v[104:107], a[112:113], v[44:45], 0// 000000006A3C: D3F30068 0A025970
	v_mfma_f32_16x16x32_fp8_fp8 v[100:103], a[98:99], v[46:47], v[100:103]// 000000006A44: D3F30064 0D925D62
	buffer_load_dwordx4 a[80:83], v204, s[16:19], 0 offen offset:1024// 000000006A4C: E05C1400 808450CC
	v_mfma_f32_16x16x32_fp8_fp8 v[104:107], a[114:115], v[46:47], v[104:107]// 000000006A54: D3F30068 0DA25D72
	s_waitcnt lgkmcnt(2)                                       // 000000006A5C: BF8CC27F
	v_mfma_f32_16x16x32_fp8_fp8 v[100:103], a[100:101], v[48:49], v[100:103]// 000000006A60: D3F30064 0D926164
	v_mfma_f32_16x16x32_fp8_fp8 v[104:107], a[116:117], v[48:49], v[104:107]// 000000006A68: D3F30068 0DA26174
	v_mfma_f32_16x16x32_fp8_fp8 v[100:103], a[102:103], v[50:51], v[100:103]// 000000006A70: D3F30064 0D926566
	buffer_load_dwordx4 a[84:87], v205, s[16:19], 0 offen offset:1024// 000000006A78: E05C1400 808454CD
	v_mfma_f32_16x16x32_fp8_fp8 v[104:107], a[118:119], v[50:51], v[104:107]// 000000006A80: D3F30068 0DA26576
	s_waitcnt lgkmcnt(1)                                       // 000000006A88: BF8CC17F
	v_mfma_f32_16x16x32_fp8_fp8 v[100:103], a[104:105], v[52:53], v[100:103]// 000000006A8C: D3F30064 0D926968
	v_mfma_f32_16x16x32_fp8_fp8 v[104:107], a[120:121], v[52:53], v[104:107]// 000000006A94: D3F30068 0DA26978
	v_mfma_f32_16x16x32_fp8_fp8 v[100:103], a[106:107], v[54:55], v[100:103]// 000000006A9C: D3F30064 0D926D6A
	buffer_load_dwordx4 a[88:91], v206, s[16:19], 0 offen offset:1024// 000000006AA4: E05C1400 808458CE
	v_mfma_f32_16x16x32_fp8_fp8 v[104:107], a[122:123], v[54:55], v[104:107]// 000000006AAC: D3F30068 0DA26D7A
	s_waitcnt lgkmcnt(0)                                       // 000000006AB4: BF8CC07F
	v_mfma_f32_16x16x32_fp8_fp8 v[100:103], a[108:109], v[56:57], v[100:103]// 000000006AB8: D3F30064 0D92716C
	v_mfma_f32_16x16x32_fp8_fp8 v[104:107], a[124:125], v[56:57], v[104:107]// 000000006AC0: D3F30068 0DA2717C
	v_mfma_f32_16x16x32_fp8_fp8 v[100:103], a[110:111], v[58:59], v[100:103]// 000000006AC8: D3F30064 0D92756E
	buffer_load_dwordx4 a[92:95], v207, s[16:19], 0 offen offset:1024// 000000006AD0: E05C1400 80845CCF
	v_mfma_f32_16x16x32_fp8_fp8 v[104:107], a[126:127], v[58:59], v[104:107]// 000000006AD8: D3F30068 0DA2757E
	s_addk_i32 s64, 0x100                                      // 000000006AE0: B7400100
	s_branch label_0376                                        // 000000006AE4: BF82F2BC

0000000000006ae8 <label_10BA>:
	s_cmp_lt_i32 s64, s63                                      // 000000006AE8: BF043F40
	s_cbranch_scc0 label_1DFE                                  // 000000006AEC: BF840D42
	s_waitcnt vmcnt(10)                                        // 000000006AF0: BF8C0F7A
	v_mfma_f32_16x16x32_fp8_fp8 v[28:31], a[0:1], v[12:13], 0  // 000000006AF4: D3F3001C 0A021900
	s_add_u32 s12, s86, s69                                    // 000000006AFC: 800C4556
	s_addc_u32 s13, s87, 0                                     // 000000006B00: 820D8057
	v_mfma_f32_16x16x32_fp8_fp8 v[28:31], a[2:3], v[14:15], v[28:31]// 000000006B04: D3F3001C 0C721D02
	s_add_u32 s16, s88, s70                                    // 000000006B0C: 80104658
	s_addc_u32 s17, s89, 0                                     // 000000006B10: 82118059
	v_mfma_f32_16x16x32_fp8_fp8 v[28:31], a[4:5], v[16:17], v[28:31]// 000000006B14: D3F3001C 0C722104
	buffer_load_dwordx4 a[32:35], v202, s[12:15], 0 offen      // 000000006B1C: E05C1000 808320CA
	v_mfma_f32_16x16x32_fp8_fp8 v[28:31], a[6:7], v[18:19], v[28:31]// 000000006B24: D3F3001C 0C722506
	s_add_u32 s20, s90, s71                                    // 000000006B2C: 8014475A
	s_addc_u32 s21, s91, 0                                     // 000000006B30: 8215805B
	v_mfma_f32_16x16x32_fp8_fp8 v[32:35], a[8:9], v[12:13], 0  // 000000006B34: D3F30020 0A021908
	s_add_u32 s24, s92, s71                                    // 000000006B3C: 8018475C
	s_addc_u32 s25, s93, 0                                     // 000000006B40: 8219805D
	v_mfma_f32_16x16x32_fp8_fp8 v[32:35], a[10:11], v[14:15], v[32:35]// 000000006B44: D3F30020 0C821D0A
	s_add_u32 s69, s69, 0x1000                                 // 000000006B4C: 8045FF45 00001000
	s_add_u32 s70, s70, 0x8000                                 // 000000006B54: 8046FF46 00008000
	v_mfma_f32_16x16x32_fp8_fp8 v[32:35], a[12:13], v[16:17], v[32:35]// 000000006B5C: D3F30020 0C82210C
	buffer_load_dwordx4 a[36:39], v203, s[12:15], 0 offen      // 000000006B64: E05C1000 808324CB
	v_mfma_f32_16x16x32_fp8_fp8 v[32:35], a[14:15], v[18:19], v[32:35]// 000000006B6C: D3F30020 0C82250E
	s_add_u32 s71, s71, 0x400                                  // 000000006B74: 8047FF47 00000400
	v_mfma_f32_16x16x32_fp8_fp8 v[36:39], a[16:17], v[12:13], 0// 000000006B7C: D3F30024 0A021910
	v_mfma_f32_16x16x32_fp8_fp8 v[36:39], a[18:19], v[14:15], v[36:39]// 000000006B84: D3F30024 0C921D12
	v_mfma_f32_16x16x32_fp8_fp8 v[36:39], a[20:21], v[16:17], v[36:39]// 000000006B8C: D3F30024 0C922114
	buffer_load_dwordx4 a[40:43], v202, s[12:15], 0 offen offset:1024// 000000006B94: E05C1400 808328CA
	v_mfma_f32_16x16x32_fp8_fp8 v[36:39], a[22:23], v[18:19], v[36:39]// 000000006B9C: D3F30024 0C922516
	v_mfma_f32_16x16x32_fp8_fp8 v[40:43], a[24:25], v[12:13], 0// 000000006BA4: D3F30028 0A021918
	v_mfma_f32_16x16x32_fp8_fp8 v[40:43], a[26:27], v[14:15], v[40:43]// 000000006BAC: D3F30028 0CA21D1A
	v_mfma_f32_16x16x32_fp8_fp8 v[40:43], a[28:29], v[16:17], v[40:43]// 000000006BB4: D3F30028 0CA2211C
	buffer_load_dwordx4 a[44:47], v203, s[12:15], 0 offen offset:1024// 000000006BBC: E05C1400 80832CCB
	v_mfma_f32_16x16x32_fp8_fp8 v[40:43], a[30:31], v[18:19], v[40:43]// 000000006BC4: D3F30028 0CA2251E
	v_mfma_f32_16x16x32_fp8_fp8 v[44:47], a[0:1], v[20:21], 0  // 000000006BCC: D3F3002C 0A022900
	v_mfma_f32_16x16x32_fp8_fp8 v[44:47], a[2:3], v[22:23], v[44:47]// 000000006BD4: D3F3002C 0CB22D02
	v_mfma_f32_16x16x32_fp8_fp8 v[44:47], a[4:5], v[24:25], v[44:47]// 000000006BDC: D3F3002C 0CB23104
	buffer_load_dwordx4 a[48:51], v202, s[12:15], 0 offen offset:2048// 000000006BE4: E05C1800 808330CA
	v_mfma_f32_16x16x32_fp8_fp8 v[44:47], a[6:7], v[26:27], v[44:47]// 000000006BEC: D3F3002C 0CB23506
	v_mfma_f32_16x16x32_fp8_fp8 v[48:51], a[8:9], v[20:21], 0  // 000000006BF4: D3F30030 0A022908
	v_mfma_f32_16x16x32_fp8_fp8 v[48:51], a[10:11], v[22:23], v[48:51]// 000000006BFC: D3F30030 0CC22D0A
	v_mfma_f32_16x16x32_fp8_fp8 v[48:51], a[12:13], v[24:25], v[48:51]// 000000006C04: D3F30030 0CC2310C
	buffer_load_dwordx4 a[52:55], v203, s[12:15], 0 offen offset:2048// 000000006C0C: E05C1800 808334CB
	v_mfma_f32_16x16x32_fp8_fp8 v[48:51], a[14:15], v[26:27], v[48:51]// 000000006C14: D3F30030 0CC2350E
	v_mfma_f32_16x16x32_fp8_fp8 v[52:55], a[16:17], v[20:21], 0// 000000006C1C: D3F30034 0A022910
	v_mfma_f32_16x16x32_fp8_fp8 v[52:55], a[18:19], v[22:23], v[52:55]// 000000006C24: D3F30034 0CD22D12
	v_mfma_f32_16x16x32_fp8_fp8 v[52:55], a[20:21], v[24:25], v[52:55]// 000000006C2C: D3F30034 0CD23114
	buffer_load_dwordx4 a[56:59], v202, s[12:15], 0 offen offset:3072// 000000006C34: E05C1C00 808338CA
	v_mfma_f32_16x16x32_fp8_fp8 v[52:55], a[22:23], v[26:27], v[52:55]// 000000006C3C: D3F30034 0CD23516
	v_mfma_f32_16x16x32_fp8_fp8 v[56:59], a[24:25], v[20:21], 0// 000000006C44: D3F30038 0A022918
	v_mfma_f32_16x16x32_fp8_fp8 v[56:59], a[26:27], v[22:23], v[56:59]// 000000006C4C: D3F30038 0CE22D1A
	v_mfma_f32_16x16x32_fp8_fp8 v[56:59], a[28:29], v[24:25], v[56:59]// 000000006C54: D3F30038 0CE2311C
	buffer_load_dwordx4 a[60:63], v203, s[12:15], 0 offen offset:3072// 000000006C5C: E05C1C00 80833CCB
	v_mfma_f32_16x16x32_fp8_fp8 v[56:59], a[30:31], v[26:27], v[56:59]// 000000006C64: D3F30038 0CE2351E
	s_waitcnt vmcnt(16)                                        // 000000006C6C: BF8C4F70
	v_pk_mul_f32 v[28:29], v[124:125], v[28:29]                // 000000006C70: D3B1401C 1802397C
	v_pk_mul_f32 v[30:31], v[124:125], v[30:31]                // 000000006C78: D3B1401E 18023D7C
	v_mul_f32_dpp v28, v128, v28 row_newbcast:0 row_mask:0xf bank_mask:0xf// 000000006C80: 0A3838FA FF015080
	v_mul_f32_dpp v29, v128, v29 row_newbcast:1 row_mask:0xf bank_mask:0xf// 000000006C88: 0A3A3AFA FF015180
	v_mul_f32_dpp v30, v128, v30 row_newbcast:2 row_mask:0xf bank_mask:0xf// 000000006C90: 0A3C3CFA FF015280
	v_mul_f32_dpp v31, v128, v31 row_newbcast:3 row_mask:0xf bank_mask:0xf// 000000006C98: 0A3E3EFA FF015380
	v_pk_mul_f32 v[32:33], v[124:125], v[32:33]                // 000000006CA0: D3B14020 1802417C
	v_pk_mul_f32 v[34:35], v[124:125], v[34:35]                // 000000006CA8: D3B14022 1802457C
	v_mul_f32_dpp v32, v128, v32 row_newbcast:4 row_mask:0xf bank_mask:0xf// 000000006CB0: 0A4040FA FF015480
	v_mul_f32_dpp v33, v128, v33 row_newbcast:5 row_mask:0xf bank_mask:0xf// 000000006CB8: 0A4242FA FF015580
	v_mul_f32_dpp v34, v128, v34 row_newbcast:6 row_mask:0xf bank_mask:0xf// 000000006CC0: 0A4444FA FF015680
	v_mul_f32_dpp v35, v128, v35 row_newbcast:7 row_mask:0xf bank_mask:0xf// 000000006CC8: 0A4646FA FF015780
	v_pk_mul_f32 v[36:37], v[124:125], v[36:37]                // 000000006CD0: D3B14024 1802497C
	v_pk_mul_f32 v[38:39], v[124:125], v[38:39]                // 000000006CD8: D3B14026 18024D7C
	v_mul_f32_dpp v36, v128, v36 row_newbcast:8 row_mask:0xf bank_mask:0xf// 000000006CE0: 0A4848FA FF015880
	v_mul_f32_dpp v37, v128, v37 row_newbcast:9 row_mask:0xf bank_mask:0xf// 000000006CE8: 0A4A4AFA FF015980
	v_mul_f32_dpp v38, v128, v38 row_newbcast:10 row_mask:0xf bank_mask:0xf// 000000006CF0: 0A4C4CFA FF015A80
	v_mul_f32_dpp v39, v128, v39 row_newbcast:11 row_mask:0xf bank_mask:0xf// 000000006CF8: 0A4E4EFA FF015B80
	v_pk_mul_f32 v[40:41], v[124:125], v[40:41]                // 000000006D00: D3B14028 1802517C
	v_pk_mul_f32 v[42:43], v[124:125], v[42:43]                // 000000006D08: D3B1402A 1802557C
	v_mul_f32_dpp v40, v128, v40 row_newbcast:12 row_mask:0xf bank_mask:0xf// 000000006D10: 0A5050FA FF015C80
	v_mul_f32_dpp v41, v128, v41 row_newbcast:13 row_mask:0xf bank_mask:0xf// 000000006D18: 0A5252FA FF015D80
	v_mul_f32_dpp v42, v128, v42 row_newbcast:14 row_mask:0xf bank_mask:0xf// 000000006D20: 0A5454FA FF015E80
	v_mul_f32_dpp v43, v128, v43 row_newbcast:15 row_mask:0xf bank_mask:0xf// 000000006D28: 0A5656FA FF015F80
	v_pk_mul_f32 v[44:45], v[126:127], v[44:45]                // 000000006D30: D3B1402C 1802597E
	v_pk_mul_f32 v[46:47], v[126:127], v[46:47]                // 000000006D38: D3B1402E 18025D7E
	v_mul_f32_dpp v44, v128, v44 row_newbcast:0 row_mask:0xf bank_mask:0xf// 000000006D40: 0A5858FA FF015080
	v_mul_f32_dpp v45, v128, v45 row_newbcast:1 row_mask:0xf bank_mask:0xf// 000000006D48: 0A5A5AFA FF015180
	v_mul_f32_dpp v46, v128, v46 row_newbcast:2 row_mask:0xf bank_mask:0xf// 000000006D50: 0A5C5CFA FF015280
	v_mul_f32_dpp v47, v128, v47 row_newbcast:3 row_mask:0xf bank_mask:0xf// 000000006D58: 0A5E5EFA FF015380
	v_pk_mul_f32 v[48:49], v[126:127], v[48:49]                // 000000006D60: D3B14030 1802617E
	v_pk_mul_f32 v[50:51], v[126:127], v[50:51]                // 000000006D68: D3B14032 1802657E
	v_mul_f32_dpp v48, v128, v48 row_newbcast:4 row_mask:0xf bank_mask:0xf// 000000006D70: 0A6060FA FF015480
	v_mul_f32_dpp v49, v128, v49 row_newbcast:5 row_mask:0xf bank_mask:0xf// 000000006D78: 0A6262FA FF015580
	v_mul_f32_dpp v50, v128, v50 row_newbcast:6 row_mask:0xf bank_mask:0xf// 000000006D80: 0A6464FA FF015680
	v_mul_f32_dpp v51, v128, v51 row_newbcast:7 row_mask:0xf bank_mask:0xf// 000000006D88: 0A6666FA FF015780
	v_pk_mul_f32 v[52:53], v[126:127], v[52:53]                // 000000006D90: D3B14034 1802697E
	v_pk_mul_f32 v[54:55], v[126:127], v[54:55]                // 000000006D98: D3B14036 18026D7E
	v_mul_f32_dpp v52, v128, v52 row_newbcast:8 row_mask:0xf bank_mask:0xf// 000000006DA0: 0A6868FA FF015880
	v_mul_f32_dpp v53, v128, v53 row_newbcast:9 row_mask:0xf bank_mask:0xf// 000000006DA8: 0A6A6AFA FF015980
	v_mul_f32_dpp v54, v128, v54 row_newbcast:10 row_mask:0xf bank_mask:0xf// 000000006DB0: 0A6C6CFA FF015A80
	v_mul_f32_dpp v55, v128, v55 row_newbcast:11 row_mask:0xf bank_mask:0xf// 000000006DB8: 0A6E6EFA FF015B80
	v_pk_mul_f32 v[56:57], v[126:127], v[56:57]                // 000000006DC0: D3B14038 1802717E
	v_pk_mul_f32 v[58:59], v[126:127], v[58:59]                // 000000006DC8: D3B1403A 1802757E
	v_mul_f32_dpp v56, v128, v56 row_newbcast:12 row_mask:0xf bank_mask:0xf// 000000006DD0: 0A7070FA FF015C80
	v_mul_f32_dpp v57, v128, v57 row_newbcast:13 row_mask:0xf bank_mask:0xf// 000000006DD8: 0A7272FA FF015D80
	v_mul_f32_dpp v58, v128, v58 row_newbcast:14 row_mask:0xf bank_mask:0xf// 000000006DE0: 0A7474FA FF015E80
	v_mul_f32_dpp v59, v128, v59 row_newbcast:15 row_mask:0xf bank_mask:0xf// 000000006DE8: 0A7676FA FF015F80
	v_mov_b32_e32 v150, v28                                    // 000000006DF0: 7F2C031C
	v_max3_f32 v150, v28, v29, v150                            // 000000006DF4: D1D30096 065A3B1C
	v_max3_f32 v150, v30, v31, v150                            // 000000006DFC: D1D30096 065A3F1E
	v_max3_f32 v150, v32, v33, v150                            // 000000006E04: D1D30096 065A4320
	v_max3_f32 v150, v34, v35, v150                            // 000000006E0C: D1D30096 065A4722
	v_max3_f32 v150, v36, v37, v150                            // 000000006E14: D1D30096 065A4B24
	v_max3_f32 v150, v38, v39, v150                            // 000000006E1C: D1D30096 065A4F26
	v_max3_f32 v150, v40, v41, v150                            // 000000006E24: D1D30096 065A5328
	v_max3_f32 v150, v42, v43, v150                            // 000000006E2C: D1D30096 065A572A
	v_mov_b32_e32 v151, v44                                    // 000000006E34: 7F2E032C
	v_max3_f32 v151, v44, v45, v151                            // 000000006E38: D1D30097 065E5B2C
	v_max3_f32 v151, v46, v47, v151                            // 000000006E40: D1D30097 065E5F2E
	v_max3_f32 v151, v48, v49, v151                            // 000000006E48: D1D30097 065E6330
	v_max3_f32 v151, v50, v51, v151                            // 000000006E50: D1D30097 065E6732
	v_max3_f32 v151, v52, v53, v151                            // 000000006E58: D1D30097 065E6B34
	v_max3_f32 v151, v54, v55, v151                            // 000000006E60: D1D30097 065E6F36
	v_max3_f32 v151, v56, v57, v151                            // 000000006E68: D1D30097 065E7338
	v_max3_f32 v151, v58, v59, v151                            // 000000006E70: D1D30097 065E773A
	ds_write_b64 v220, v[150:151]                              // 000000006E78: D89A0000 000096DC
	v_pk_mul_f32 v[108:109], v[142:143], v[108:109]            // 000000006E80: D3B1406C 1802D98E
	v_pk_mul_f32 v[110:111], v[142:143], v[110:111]            // 000000006E88: D3B1406E 1802DD8E
	v_pk_mul_f32 v[112:113], v[142:143], v[112:113]            // 000000006E90: D3B14070 1802E18E
	v_pk_mul_f32 v[114:115], v[142:143], v[114:115]            // 000000006E98: D3B14072 1802E58E
	v_pk_mul_f32 v[116:117], v[144:145], v[116:117]            // 000000006EA0: D3B14074 1802E990
	v_pk_mul_f32 v[118:119], v[144:145], v[118:119]            // 000000006EA8: D3B14076 1802ED90
	v_pk_mul_f32 v[120:121], v[144:145], v[120:121]            // 000000006EB0: D3B14078 1802F190
	v_pk_mul_f32 v[122:123], v[144:145], v[122:123]            // 000000006EB8: D3B1407A 1802F590
	s_waitcnt lgkmcnt(0)                                       // 000000006EC0: BF8CC07F
	s_barrier                                                  // 000000006EC4: BF8A0000
	v_pk_mul_f32 v[92:93], v[132:133], v[92:93]                // 000000006EC8: D3B1405C 1802B984
	v_pk_mul_f32 v[94:95], v[132:133], v[94:95]                // 000000006ED0: D3B1405E 1802BD84
	v_pk_mul_f32 v[96:97], v[132:133], v[96:97]                // 000000006ED8: D3B14060 1802C184
	v_pk_mul_f32 v[98:99], v[132:133], v[98:99]                // 000000006EE0: D3B14062 1802C584
	v_pk_mul_f32 v[100:101], v[134:135], v[100:101]            // 000000006EE8: D3B14064 1802C986
	v_pk_mul_f32 v[102:103], v[134:135], v[102:103]            // 000000006EF0: D3B14066 1802CD86
	v_pk_mul_f32 v[104:105], v[134:135], v[104:105]            // 000000006EF8: D3B14068 1802D186
	v_pk_mul_f32 v[106:107], v[134:135], v[106:107]            // 000000006F00: D3B1406A 1802D586
	ds_read_b64 v[154:155], v221                               // 000000006F08: D8EC0000 9A0000DD
	ds_read_b64 v[156:157], v221 offset:128                    // 000000006F10: D8EC0080 9C0000DD
	ds_read_b64 v[158:159], v221 offset:256                    // 000000006F18: D8EC0100 9E0000DD
	ds_read_b64 v[160:161], v221 offset:384                    // 000000006F20: D8EC0180 A00000DD
	ds_read_b64 v[162:163], v221 offset:512                    // 000000006F28: D8EC0200 A20000DD
	ds_read_b64 v[164:165], v221 offset:640                    // 000000006F30: D8EC0280 A40000DD
	ds_read_b64 v[166:167], v221 offset:768                    // 000000006F38: D8EC0300 A60000DD
	ds_read_b64 v[168:169], v221 offset:896                    // 000000006F40: D8EC0380 A80000DD
	ds_read_b64 v[170:171], v221 offset:1024                   // 000000006F48: D8EC0400 AA0000DD
	ds_read_b64 v[172:173], v221 offset:1152                   // 000000006F50: D8EC0480 AC0000DD
	ds_read_b64 v[174:175], v221 offset:1280                   // 000000006F58: D8EC0500 AE0000DD
	ds_read_b64 v[176:177], v221 offset:1408                   // 000000006F60: D8EC0580 B00000DD
	ds_read_b64 v[178:179], v221 offset:1536                   // 000000006F68: D8EC0600 B20000DD
	ds_read_b64 v[180:181], v221 offset:1664                   // 000000006F70: D8EC0680 B40000DD
	ds_read_b64 v[182:183], v221 offset:1792                   // 000000006F78: D8EC0700 B60000DD
	ds_read_b64 v[184:185], v221 offset:1920                   // 000000006F80: D8EC0780 B80000DD
	s_waitcnt lgkmcnt(0)                                       // 000000006F88: BF8CC07F
	v_max3_f32 v150, v154, v156, v150                          // 000000006F8C: D1D30096 065B399A
	v_max3_f32 v151, v155, v157, v151                          // 000000006F94: D1D30097 065F3B9B
	v_max3_f32 v150, v158, v160, v150                          // 000000006F9C: D1D30096 065B419E
	v_max3_f32 v151, v159, v161, v151                          // 000000006FA4: D1D30097 065F439F
	v_max3_f32 v150, v162, v164, v150                          // 000000006FAC: D1D30096 065B49A2
	v_max3_f32 v151, v163, v165, v151                          // 000000006FB4: D1D30097 065F4BA3
	v_max3_f32 v150, v166, v168, v150                          // 000000006FBC: D1D30096 065B51A6
	v_max3_f32 v151, v167, v169, v151                          // 000000006FC4: D1D30097 065F53A7
	v_max3_f32 v150, v170, v172, v150                          // 000000006FCC: D1D30096 065B59AA
	v_max3_f32 v151, v171, v173, v151                          // 000000006FD4: D1D30097 065F5BAB
	v_max3_f32 v150, v174, v176, v150                          // 000000006FDC: D1D30096 065B61AE
	v_max3_f32 v151, v175, v177, v151                          // 000000006FE4: D1D30097 065F63AF
	v_max3_f32 v150, v178, v180, v150                          // 000000006FEC: D1D30096 065B69B2
	v_max3_f32 v151, v179, v181, v151                          // 000000006FF4: D1D30097 065F6BB3
	v_max3_f32 v150, v182, v184, v150                          // 000000006FFC: D1D30096 065B71B6
	v_max3_f32 v151, v183, v185, v151                          // 000000007004: D1D30097 065F73B7
	v_max_f32_e32 v140, v150, v138                             // 00000000700C: 17191596
	v_mul_f32_e64 v186, -s46, v140                             // 000000007010: D10500BA 2003182E
	v_mov_b32_e32 v187, v186                                   // 000000007018: 7F7603BA
	v_pk_fma_f32 v[28:29], v[28:29], s[46:47], v[186:187]      // 00000000701C: D3B0401C 1EE85D1C
	v_pk_fma_f32 v[30:31], v[30:31], s[46:47], v[186:187]      // 000000007024: D3B0401E 1EE85D1E
	v_exp_f32_e32 v28, v28                                     // 00000000702C: 7E38411C
	v_exp_f32_e32 v29, v29                                     // 000000007030: 7E3A411D
	v_exp_f32_e32 v30, v30                                     // 000000007034: 7E3C411E
	v_exp_f32_e32 v31, v31                                     // 000000007038: 7E3E411F
	v_pk_fma_f32 v[32:33], v[32:33], s[46:47], v[186:187]      // 00000000703C: D3B04020 1EE85D20
	v_pk_fma_f32 v[34:35], v[34:35], s[46:47], v[186:187]      // 000000007044: D3B04022 1EE85D22
	v_exp_f32_e32 v32, v32                                     // 00000000704C: 7E404120
	v_exp_f32_e32 v33, v33                                     // 000000007050: 7E424121
	v_exp_f32_e32 v34, v34                                     // 000000007054: 7E444122
	v_exp_f32_e32 v35, v35                                     // 000000007058: 7E464123
	v_pk_fma_f32 v[36:37], v[36:37], s[46:47], v[186:187]      // 00000000705C: D3B04024 1EE85D24
	v_pk_fma_f32 v[38:39], v[38:39], s[46:47], v[186:187]      // 000000007064: D3B04026 1EE85D26
	v_exp_f32_e32 v36, v36                                     // 00000000706C: 7E484124
	v_exp_f32_e32 v37, v37                                     // 000000007070: 7E4A4125
	v_exp_f32_e32 v38, v38                                     // 000000007074: 7E4C4126
	v_exp_f32_e32 v39, v39                                     // 000000007078: 7E4E4127
	v_pk_fma_f32 v[40:41], v[40:41], s[46:47], v[186:187]      // 00000000707C: D3B04028 1EE85D28
	v_pk_fma_f32 v[42:43], v[42:43], s[46:47], v[186:187]      // 000000007084: D3B0402A 1EE85D2A
	v_exp_f32_e32 v40, v40                                     // 00000000708C: 7E504128
	v_exp_f32_e32 v41, v41                                     // 000000007090: 7E524129
	v_exp_f32_e32 v42, v42                                     // 000000007094: 7E54412A
	v_exp_f32_e32 v43, v43                                     // 000000007098: 7E56412B
	v_max_f32_e32 v141, v151, v139                             // 00000000709C: 171B1797
	v_mul_f32_e64 v186, -s46, v141                             // 0000000070A0: D10500BA 20031A2E
	v_mov_b32_e32 v187, v186                                   // 0000000070A8: 7F7603BA
	v_pk_fma_f32 v[44:45], v[44:45], s[46:47], v[186:187]      // 0000000070AC: D3B0402C 1EE85D2C
	v_pk_fma_f32 v[46:47], v[46:47], s[46:47], v[186:187]      // 0000000070B4: D3B0402E 1EE85D2E
	v_exp_f32_e32 v44, v44                                     // 0000000070BC: 7E58412C
	v_exp_f32_e32 v45, v45                                     // 0000000070C0: 7E5A412D
	v_exp_f32_e32 v46, v46                                     // 0000000070C4: 7E5C412E
	v_exp_f32_e32 v47, v47                                     // 0000000070C8: 7E5E412F
	v_pk_fma_f32 v[48:49], v[48:49], s[46:47], v[186:187]      // 0000000070CC: D3B04030 1EE85D30
	v_pk_fma_f32 v[50:51], v[50:51], s[46:47], v[186:187]      // 0000000070D4: D3B04032 1EE85D32
	v_exp_f32_e32 v48, v48                                     // 0000000070DC: 7E604130
	v_exp_f32_e32 v49, v49                                     // 0000000070E0: 7E624131
	v_exp_f32_e32 v50, v50                                     // 0000000070E4: 7E644132
	v_exp_f32_e32 v51, v51                                     // 0000000070E8: 7E664133
	v_pk_fma_f32 v[52:53], v[52:53], s[46:47], v[186:187]      // 0000000070EC: D3B04034 1EE85D34
	v_pk_fma_f32 v[54:55], v[54:55], s[46:47], v[186:187]      // 0000000070F4: D3B04036 1EE85D36
	v_exp_f32_e32 v52, v52                                     // 0000000070FC: 7E684134
	v_exp_f32_e32 v53, v53                                     // 000000007100: 7E6A4135
	v_exp_f32_e32 v54, v54                                     // 000000007104: 7E6C4136
	v_exp_f32_e32 v55, v55                                     // 000000007108: 7E6E4137
	v_pk_fma_f32 v[56:57], v[56:57], s[46:47], v[186:187]      // 00000000710C: D3B04038 1EE85D38
	v_pk_fma_f32 v[58:59], v[58:59], s[46:47], v[186:187]      // 000000007114: D3B0403A 1EE85D3A
	v_exp_f32_e32 v56, v56                                     // 00000000711C: 7E704138
	v_exp_f32_e32 v57, v57                                     // 000000007120: 7E724139
	v_exp_f32_e32 v58, v58                                     // 000000007124: 7E74413A
	v_exp_f32_e32 v59, v59                                     // 000000007128: 7E76413B
	v_mul_f32_dpp v60, v130, v28 row_newbcast:0 row_mask:0xf bank_mask:0xf// 00000000712C: 0A7838FA FF015082
	v_mul_f32_dpp v61, v130, v29 row_newbcast:1 row_mask:0xf bank_mask:0xf// 000000007134: 0A7A3AFA FF015182
	v_mul_f32_dpp v62, v130, v30 row_newbcast:2 row_mask:0xf bank_mask:0xf// 00000000713C: 0A7C3CFA FF015282
	v_mul_f32_dpp v63, v130, v31 row_newbcast:3 row_mask:0xf bank_mask:0xf// 000000007144: 0A7E3EFA FF015382
	v_mul_f32_dpp v64, v130, v32 row_newbcast:4 row_mask:0xf bank_mask:0xf// 00000000714C: 0A8040FA FF015482
	v_mul_f32_dpp v65, v130, v33 row_newbcast:5 row_mask:0xf bank_mask:0xf// 000000007154: 0A8242FA FF015582
	v_mul_f32_dpp v66, v130, v34 row_newbcast:6 row_mask:0xf bank_mask:0xf// 00000000715C: 0A8444FA FF015682
	v_mul_f32_dpp v67, v130, v35 row_newbcast:7 row_mask:0xf bank_mask:0xf// 000000007164: 0A8646FA FF015782
	v_mul_f32_dpp v68, v130, v36 row_newbcast:8 row_mask:0xf bank_mask:0xf// 00000000716C: 0A8848FA FF015882
	v_mul_f32_dpp v69, v130, v37 row_newbcast:9 row_mask:0xf bank_mask:0xf// 000000007174: 0A8A4AFA FF015982
	v_mul_f32_dpp v70, v130, v38 row_newbcast:10 row_mask:0xf bank_mask:0xf// 00000000717C: 0A8C4CFA FF015A82
	v_mul_f32_dpp v71, v130, v39 row_newbcast:11 row_mask:0xf bank_mask:0xf// 000000007184: 0A8E4EFA FF015B82
	v_mul_f32_dpp v72, v130, v40 row_newbcast:12 row_mask:0xf bank_mask:0xf// 00000000718C: 0A9050FA FF015C82
	v_mul_f32_dpp v73, v130, v41 row_newbcast:13 row_mask:0xf bank_mask:0xf// 000000007194: 0A9252FA FF015D82
	v_mul_f32_dpp v74, v130, v42 row_newbcast:14 row_mask:0xf bank_mask:0xf// 00000000719C: 0A9454FA FF015E82
	v_mul_f32_dpp v75, v130, v43 row_newbcast:15 row_mask:0xf bank_mask:0xf// 0000000071A4: 0A9656FA FF015F82
	v_mul_f32_dpp v76, v130, v44 row_newbcast:0 row_mask:0xf bank_mask:0xf// 0000000071AC: 0A9858FA FF015082
	v_mul_f32_dpp v77, v130, v45 row_newbcast:1 row_mask:0xf bank_mask:0xf// 0000000071B4: 0A9A5AFA FF015182
	v_mul_f32_dpp v78, v130, v46 row_newbcast:2 row_mask:0xf bank_mask:0xf// 0000000071BC: 0A9C5CFA FF015282
	v_mul_f32_dpp v79, v130, v47 row_newbcast:3 row_mask:0xf bank_mask:0xf// 0000000071C4: 0A9E5EFA FF015382
	v_mul_f32_dpp v80, v130, v48 row_newbcast:4 row_mask:0xf bank_mask:0xf// 0000000071CC: 0AA060FA FF015482
	v_mul_f32_dpp v81, v130, v49 row_newbcast:5 row_mask:0xf bank_mask:0xf// 0000000071D4: 0AA262FA FF015582
	v_mul_f32_dpp v82, v130, v50 row_newbcast:6 row_mask:0xf bank_mask:0xf// 0000000071DC: 0AA464FA FF015682
	v_mul_f32_dpp v83, v130, v51 row_newbcast:7 row_mask:0xf bank_mask:0xf// 0000000071E4: 0AA666FA FF015782
	v_mul_f32_dpp v84, v130, v52 row_newbcast:8 row_mask:0xf bank_mask:0xf// 0000000071EC: 0AA868FA FF015882
	v_mul_f32_dpp v85, v130, v53 row_newbcast:9 row_mask:0xf bank_mask:0xf// 0000000071F4: 0AAA6AFA FF015982
	v_mul_f32_dpp v86, v130, v54 row_newbcast:10 row_mask:0xf bank_mask:0xf// 0000000071FC: 0AAC6CFA FF015A82
	v_mul_f32_dpp v87, v130, v55 row_newbcast:11 row_mask:0xf bank_mask:0xf// 000000007204: 0AAE6EFA FF015B82
	v_mul_f32_dpp v88, v130, v56 row_newbcast:12 row_mask:0xf bank_mask:0xf// 00000000720C: 0AB070FA FF015C82
	v_mul_f32_dpp v89, v130, v57 row_newbcast:13 row_mask:0xf bank_mask:0xf// 000000007214: 0AB272FA FF015D82
	v_mul_f32_dpp v90, v130, v58 row_newbcast:14 row_mask:0xf bank_mask:0xf// 00000000721C: 0AB474FA FF015E82
	v_mul_f32_dpp v91, v130, v59 row_newbcast:15 row_mask:0xf bank_mask:0xf// 000000007224: 0AB676FA FF015F82
	v_mov_b32_e32 v150, 0x358637bd                             // 00000000722C: 7F2C02FF 358637BD
	v_max3_f32 v150, |v60|, |v61|, v150                        // 000000007234: D1D30396 065A7B3C
	v_max3_f32 v150, |v62|, |v63|, v150                        // 00000000723C: D1D30396 065A7F3E
	v_max3_f32 v150, |v64|, |v65|, v150                        // 000000007244: D1D30396 065A8340
	v_max3_f32 v150, |v66|, |v67|, v150                        // 00000000724C: D1D30396 065A8742
	v_max3_f32 v150, |v68|, |v69|, v150                        // 000000007254: D1D30396 065A8B44
	v_max3_f32 v150, |v70|, |v71|, v150                        // 00000000725C: D1D30396 065A8F46
	v_max3_f32 v150, |v72|, |v73|, v150                        // 000000007264: D1D30396 065A9348
	v_max3_f32 v150, |v74|, |v75|, v150                        // 00000000726C: D1D30396 065A974A
	v_mov_b32_e32 v151, 0x358637bd                             // 000000007274: 7F2E02FF 358637BD
	v_max3_f32 v151, |v76|, |v77|, v151                        // 00000000727C: D1D30397 065E9B4C
	v_max3_f32 v151, |v78|, |v79|, v151                        // 000000007284: D1D30397 065E9F4E
	v_max3_f32 v151, |v80|, |v81|, v151                        // 00000000728C: D1D30397 065EA350
	v_max3_f32 v151, |v82|, |v83|, v151                        // 000000007294: D1D30397 065EA752
	v_max3_f32 v151, |v84|, |v85|, v151                        // 00000000729C: D1D30397 065EAB54
	v_max3_f32 v151, |v86|, |v87|, v151                        // 0000000072A4: D1D30397 065EAF56
	v_max3_f32 v151, |v88|, |v89|, v151                        // 0000000072AC: D1D30397 065EB358
	v_max3_f32 v151, |v90|, |v91|, v151                        // 0000000072B4: D1D30397 065EB75A
	ds_write_b64 v220, v[150:151] offset:2304                  // 0000000072BC: D89A0900 000096DC
	buffer_load_dword v129, v208, s[20:23], 0 offen            // 0000000072C4: E0501000 800581D0
	v_sub_f32_e32 v142, v138, v140                             // 0000000072CC: 051D198A
	v_cmp_eq_u32_e64 s[98:99], v197, v138                      // 0000000072D0: D0CA0062 000315C5
	v_cndmask_b32_e64 v142, v142, 0, s[98:99]                  // 0000000072D8: D100008E 0189018E
	v_mov_b32_e32 v138, v140                                   // 0000000072E0: 7F14038C
	v_mul_f32_e32 v142, s46, v142                              // 0000000072E4: 0B1D1C2E
	v_exp_f32_e32 v142, v142                                   // 0000000072E8: 7F1C418E
	v_sub_f32_e32 v144, v139, v141                             // 0000000072EC: 05211B8B
	v_cmp_eq_u32_e64 s[98:99], v197, v139                      // 0000000072F0: D0CA0062 000317C5
	v_cndmask_b32_e64 v144, v144, 0, s[98:99]                  // 0000000072F8: D1000090 01890190
	v_mov_b32_e32 v139, v141                                   // 000000007300: 7F16038D
	v_mul_f32_e32 v144, s46, v144                              // 000000007304: 0B21202E
	v_exp_f32_e32 v144, v144                                   // 000000007308: 7F204190
	v_mov_b32_e32 v143, v142                                   // 00000000730C: 7F1E038E
	v_mov_b32_e32 v145, v144                                   // 000000007310: 7F220390
	buffer_load_dword v131, v209, s[24:27], 0 offen            // 000000007314: E0501000 800683D1
	s_waitcnt lgkmcnt(0)                                       // 00000000731C: BF8CC07F
	s_barrier                                                  // 000000007320: BF8A0000
	v_mul_f32_e32 v146, v142, v146                             // 000000007324: 0B25258E
	v_mov_b32_e32 v147, 0                                      // 000000007328: 7F260280
	v_pk_add_f32 v[146:147], v[28:29], v[146:147]              // 00000000732C: D3B24092 1803251C
	v_pk_add_f32 v[146:147], v[30:31], v[146:147]              // 000000007334: D3B24092 1803251E
	v_pk_add_f32 v[146:147], v[32:33], v[146:147]              // 00000000733C: D3B24092 18032520
	v_pk_add_f32 v[146:147], v[34:35], v[146:147]              // 000000007344: D3B24092 18032522
	v_pk_add_f32 v[146:147], v[36:37], v[146:147]              // 00000000734C: D3B24092 18032524
	v_pk_add_f32 v[146:147], v[38:39], v[146:147]              // 000000007354: D3B24092 18032526
	v_pk_add_f32 v[146:147], v[40:41], v[146:147]              // 00000000735C: D3B24092 18032528
	v_pk_add_f32 v[146:147], v[42:43], v[146:147]              // 000000007364: D3B24092 1803252A
	v_add_f32_e32 v146, v147, v146                             // 00000000736C: 03252593
	v_mul_f32_e32 v148, v144, v148                             // 000000007370: 0B292990
	v_mov_b32_e32 v149, 0                                      // 000000007374: 7F2A0280
	v_pk_add_f32 v[148:149], v[44:45], v[148:149]              // 000000007378: D3B24094 1803292C
	v_pk_add_f32 v[148:149], v[46:47], v[148:149]              // 000000007380: D3B24094 1803292E
	v_pk_add_f32 v[148:149], v[48:49], v[148:149]              // 000000007388: D3B24094 18032930
	v_pk_add_f32 v[148:149], v[50:51], v[148:149]              // 000000007390: D3B24094 18032932
	;; [unrolled: 1-line block ×3, first 2 shown]
	v_pk_add_f32 v[148:149], v[54:55], v[148:149]              // 0000000073A0: D3B24094 18032936
	v_pk_add_f32 v[148:149], v[56:57], v[148:149]              // 0000000073A8: D3B24094 18032938
	v_pk_add_f32 v[148:149], v[58:59], v[148:149]              // 0000000073B0: D3B24094 1803293A
	v_add_f32_e32 v148, v149, v148                             // 0000000073B8: 03292995
	ds_read_b64 v[154:155], v221 offset:2304                   // 0000000073BC: D8EC0900 9A0000DD
	ds_read_b64 v[156:157], v221 offset:2432                   // 0000000073C4: D8EC0980 9C0000DD
	ds_read_b64 v[158:159], v221 offset:2560                   // 0000000073CC: D8EC0A00 9E0000DD
	ds_read_b64 v[160:161], v221 offset:2688                   // 0000000073D4: D8EC0A80 A00000DD
	ds_read_b64 v[162:163], v221 offset:2816                   // 0000000073DC: D8EC0B00 A20000DD
	ds_read_b64 v[164:165], v221 offset:2944                   // 0000000073E4: D8EC0B80 A40000DD
	ds_read_b64 v[166:167], v221 offset:3072                   // 0000000073EC: D8EC0C00 A60000DD
	ds_read_b64 v[168:169], v221 offset:3200                   // 0000000073F4: D8EC0C80 A80000DD
	ds_read_b64 v[170:171], v221 offset:3328                   // 0000000073FC: D8EC0D00 AA0000DD
	ds_read_b64 v[172:173], v221 offset:3456                   // 000000007404: D8EC0D80 AC0000DD
	ds_read_b64 v[174:175], v221 offset:3584                   // 00000000740C: D8EC0E00 AE0000DD
	ds_read_b64 v[176:177], v221 offset:3712                   // 000000007414: D8EC0E80 B00000DD
	ds_read_b64 v[178:179], v221 offset:3840                   // 00000000741C: D8EC0F00 B20000DD
	ds_read_b64 v[180:181], v221 offset:3968                   // 000000007424: D8EC0F80 B40000DD
	ds_read_b64 v[182:183], v221 offset:4096                   // 00000000742C: D8EC1000 B60000DD
	ds_read_b64 v[184:185], v221 offset:4224                   // 000000007434: D8EC1080 B80000DD
	s_waitcnt lgkmcnt(0)                                       // 00000000743C: BF8CC07F
	v_max3_f32 v150, v154, v156, v150                          // 000000007440: D1D30096 065B399A
	v_max3_f32 v151, v155, v157, v151                          // 000000007448: D1D30097 065F3B9B
	v_max3_f32 v150, v158, v160, v150                          // 000000007450: D1D30096 065B419E
	v_max3_f32 v151, v159, v161, v151                          // 000000007458: D1D30097 065F439F
	v_max3_f32 v150, v162, v164, v150                          // 000000007460: D1D30096 065B49A2
	v_max3_f32 v151, v163, v165, v151                          // 000000007468: D1D30097 065F4BA3
	v_max3_f32 v150, v166, v168, v150                          // 000000007470: D1D30096 065B51A6
	v_max3_f32 v151, v167, v169, v151                          // 000000007478: D1D30097 065F53A7
	v_max3_f32 v150, v170, v172, v150                          // 000000007480: D1D30096 065B59AA
	v_max3_f32 v151, v171, v173, v151                          // 000000007488: D1D30097 065F5BAB
	v_max3_f32 v150, v174, v176, v150                          // 000000007490: D1D30096 065B61AE
	v_max3_f32 v151, v175, v177, v151                          // 000000007498: D1D30097 065F63AF
	v_max3_f32 v150, v178, v180, v150                          // 0000000074A0: D1D30096 065B69B2
	v_max3_f32 v151, v179, v181, v151                          // 0000000074A8: D1D30097 065F6BB3
	v_max3_f32 v150, v182, v184, v150                          // 0000000074B0: D1D30096 065B71B6
	v_max3_f32 v151, v183, v185, v151                          // 0000000074B8: D1D30097 065F73B7
	v_rcp_f32_e32 v150, v150                                   // 0000000074C0: 7F2C4596
	v_rcp_f32_e32 v151, v151                                   // 0000000074C4: 7F2E4597
	v_mul_f32_e32 v150, 0x43700000, v150                       // 0000000074C8: 0B2D2CFF 43700000
	v_mul_f32_e32 v151, 0x43700000, v151                       // 0000000074D0: 0B2F2EFF 43700000
	v_mov_b32_e32 v152, v151                                   // 0000000074D8: 7F300397
	v_mov_b32_e32 v153, v151                                   // 0000000074DC: 7F320397
	v_mov_b32_e32 v151, v150                                   // 0000000074E0: 7F2E0396
	v_pk_mul_f32 v[28:29], v[150:151], v[60:61]                // 0000000074E4: D3B1401C 18027996
	v_pk_mul_f32 v[30:31], v[150:151], v[62:63]                // 0000000074EC: D3B1401E 18027D96
	v_pk_mul_f32 v[32:33], v[150:151], v[64:65]                // 0000000074F4: D3B14020 18028196
	v_pk_mul_f32 v[34:35], v[150:151], v[66:67]                // 0000000074FC: D3B14022 18028596
	v_pk_mul_f32 v[36:37], v[150:151], v[68:69]                // 000000007504: D3B14024 18028996
	v_pk_mul_f32 v[38:39], v[150:151], v[70:71]                // 00000000750C: D3B14026 18028D96
	v_pk_mul_f32 v[40:41], v[150:151], v[72:73]                // 000000007514: D3B14028 18029196
	v_pk_mul_f32 v[42:43], v[150:151], v[74:75]                // 00000000751C: D3B1402A 18029596
	v_pk_mul_f32 v[44:45], v[152:153], v[76:77]                // 000000007524: D3B1402C 18029998
	v_pk_mul_f32 v[46:47], v[152:153], v[78:79]                // 00000000752C: D3B1402E 18029D98
	v_pk_mul_f32 v[48:49], v[152:153], v[80:81]                // 000000007534: D3B14030 1802A198
	v_pk_mul_f32 v[50:51], v[152:153], v[82:83]                // 00000000753C: D3B14032 1802A598
	v_pk_mul_f32 v[52:53], v[152:153], v[84:85]                // 000000007544: D3B14034 1802A998
	v_pk_mul_f32 v[54:55], v[152:153], v[86:87]                // 00000000754C: D3B14036 1802AD98
	v_pk_mul_f32 v[56:57], v[152:153], v[88:89]                // 000000007554: D3B14038 1802B198
	v_pk_mul_f32 v[58:59], v[152:153], v[90:91]                // 00000000755C: D3B1403A 1802B598
	v_cvt_pk_fp8_f32 v28, v28, v29                             // 000000007564: D2A2001C 00023B1C
	v_cvt_pk_fp8_f32 v28, v30, v31 op_sel:[0,0,1]              // 00000000756C: D2A2401C 00023F1E
	v_cvt_pk_fp8_f32 v29, v32, v33                             // 000000007574: D2A2001D 00024320
	v_cvt_pk_fp8_f32 v29, v34, v35 op_sel:[0,0,1]              // 00000000757C: D2A2401D 00024722
	v_cvt_pk_fp8_f32 v30, v36, v37                             // 000000007584: D2A2001E 00024B24
	v_cvt_pk_fp8_f32 v30, v38, v39 op_sel:[0,0,1]              // 00000000758C: D2A2401E 00024F26
	v_cvt_pk_fp8_f32 v31, v40, v41                             // 000000007594: D2A2001F 00025328
	v_cvt_pk_fp8_f32 v31, v42, v43 op_sel:[0,0,1]              // 00000000759C: D2A2401F 0002572A
	v_cvt_pk_fp8_f32 v32, v44, v45                             // 0000000075A4: D2A20020 00025B2C
	v_cvt_pk_fp8_f32 v32, v46, v47 op_sel:[0,0,1]              // 0000000075AC: D2A24020 00025F2E
	v_cvt_pk_fp8_f32 v33, v48, v49                             // 0000000075B4: D2A20021 00026330
	v_cvt_pk_fp8_f32 v33, v50, v51 op_sel:[0,0,1]              // 0000000075BC: D2A24021 00026732
	v_cvt_pk_fp8_f32 v34, v52, v53                             // 0000000075C4: D2A20022 00026B34
	v_cvt_pk_fp8_f32 v34, v54, v55 op_sel:[0,0,1]              // 0000000075CC: D2A24022 00026F36
	v_cvt_pk_fp8_f32 v35, v56, v57                             // 0000000075D4: D2A20023 00027338
	v_cvt_pk_fp8_f32 v35, v58, v59 op_sel:[0,0,1]              // 0000000075DC: D2A24023 0002773A
	ds_write_b32 v222, v28 offset:4608                         // 0000000075E4: D81A1200 00001CDE
	ds_write_b32 v222, v29 offset:5632                         // 0000000075EC: D81A1600 00001DDE
	ds_write_b32 v222, v30 offset:6656                         // 0000000075F4: D81A1A00 00001EDE
	ds_write_b32 v222, v31 offset:7680                         // 0000000075FC: D81A1E00 00001FDE
	ds_write_b32 v222, v32 offset:8704                         // 000000007604: D81A2200 000020DE
	ds_write_b32 v222, v33 offset:9728                         // 00000000760C: D81A2600 000021DE
	ds_write_b32 v222, v34 offset:10752                        // 000000007614: D81A2A00 000022DE
	ds_write_b32 v222, v35 offset:11776                        // 00000000761C: D81A2E00 000023DE
	v_rcp_f32_e32 v132, v150                                   // 000000007624: 7F084596
	v_rcp_f32_e32 v134, v152                                   // 000000007628: 7F0C4598
	v_mov_b32_e32 v133, v132                                   // 00000000762C: 7F0A0384
	v_mov_b32_e32 v135, v134                                   // 000000007630: 7F0E0386
	v_pk_add_f32 v[108:109], v[108:109], v[92:93]              // 000000007634: D3B2406C 1802B96C
	v_pk_add_f32 v[110:111], v[110:111], v[94:95]              // 00000000763C: D3B2406E 1802BD6E
	v_pk_add_f32 v[112:113], v[112:113], v[96:97]              // 000000007644: D3B24070 1802C170
	v_pk_add_f32 v[114:115], v[114:115], v[98:99]              // 00000000764C: D3B24072 1802C572
	v_pk_add_f32 v[116:117], v[116:117], v[100:101]            // 000000007654: D3B24074 1802C974
	v_pk_add_f32 v[118:119], v[118:119], v[102:103]            // 00000000765C: D3B24076 1802CD76
	v_pk_add_f32 v[120:121], v[120:121], v[104:105]            // 000000007664: D3B24078 1802D178
	v_pk_add_f32 v[122:123], v[122:123], v[106:107]            // 00000000766C: D3B2407A 1802D57A
	s_waitcnt lgkmcnt(0)                                       // 000000007674: BF8CC07F
	s_barrier                                                  // 000000007678: BF8A0000
	ds_read_b128 v[28:31], v223 offset:4608                    // 00000000767C: D9FE1200 1C0000DF
	ds_read_b128 v[32:35], v223 offset:5632                    // 000000007684: D9FE1600 200000DF
	ds_read_b128 v[36:39], v223 offset:6656                    // 00000000768C: D9FE1A00 240000DF
	ds_read_b128 v[40:43], v223 offset:7680                    // 000000007694: D9FE1E00 280000DF
	ds_read_b128 v[44:47], v223 offset:8704                    // 00000000769C: D9FE2200 2C0000DF
	ds_read_b128 v[48:51], v223 offset:9728                    // 0000000076A4: D9FE2600 300000DF
	ds_read_b128 v[52:55], v223 offset:10752                   // 0000000076AC: D9FE2A00 340000DF
	ds_read_b128 v[56:59], v223 offset:11776                   // 0000000076B4: D9FE2E00 380000DF
	s_waitcnt vmcnt(10)                                        // 0000000076BC: BF8C0F7A
	s_waitcnt lgkmcnt(7)                                       // 0000000076C0: BF8CC77F
	v_mfma_f32_16x16x32_fp8_fp8 v[92:95], a[64:65], v[28:29], 0// 0000000076C4: D3F3005C 0A023940
	s_lshl_b32 s68, s76, 2                                     // 0000000076CC: 8E44824C
	v_mfma_f32_16x16x32_fp8_fp8 v[96:99], a[80:81], v[28:29], 0// 0000000076D0: D3F30060 0A023950
	s_cmp_lt_u32 s76, s77                                      // 0000000076D8: BF0A4D4C
	s_cselect_b32 s68, s68, 0                                  // 0000000076DC: 85448044
	v_mfma_f32_16x16x32_fp8_fp8 v[92:95], a[66:67], v[30:31], v[92:95]// 0000000076E0: D3F3005C 0D723D42
	buffer_load_dwordx4 a[96:99], v204, s[16:19], 0 offen      // 0000000076E8: E05C1000 808460CC
	v_mfma_f32_16x16x32_fp8_fp8 v[96:99], a[82:83], v[30:31], v[96:99]// 0000000076F0: D3F30060 0D823D52
	s_addk_i32 s76, 0x1                                        // 0000000076F8: B74C0001
	s_waitcnt lgkmcnt(6)                                       // 0000000076FC: BF8CC67F
	v_mfma_f32_16x16x32_fp8_fp8 v[92:95], a[68:69], v[32:33], v[92:95]// 000000007700: D3F3005C 0D724144
	v_mfma_f32_16x16x32_fp8_fp8 v[96:99], a[84:85], v[32:33], v[96:99]// 000000007708: D3F30060 0D824154
	v_mfma_f32_16x16x32_fp8_fp8 v[92:95], a[70:71], v[34:35], v[92:95]// 000000007710: D3F3005C 0D724546
	buffer_load_dwordx4 a[100:103], v205, s[16:19], 0 offen    // 000000007718: E05C1000 808464CD
	v_mfma_f32_16x16x32_fp8_fp8 v[96:99], a[86:87], v[34:35], v[96:99]// 000000007720: D3F30060 0D824556
	s_waitcnt lgkmcnt(5)                                       // 000000007728: BF8CC57F
	v_mfma_f32_16x16x32_fp8_fp8 v[92:95], a[72:73], v[36:37], v[92:95]// 00000000772C: D3F3005C 0D724948
	v_mfma_f32_16x16x32_fp8_fp8 v[96:99], a[88:89], v[36:37], v[96:99]// 000000007734: D3F30060 0D824958
	v_mfma_f32_16x16x32_fp8_fp8 v[92:95], a[74:75], v[38:39], v[92:95]// 00000000773C: D3F3005C 0D724D4A
	buffer_load_dwordx4 a[104:107], v206, s[16:19], 0 offen    // 000000007744: E05C1000 808468CE
	v_mfma_f32_16x16x32_fp8_fp8 v[96:99], a[90:91], v[38:39], v[96:99]// 00000000774C: D3F30060 0D824D5A
	s_waitcnt lgkmcnt(4)                                       // 000000007754: BF8CC47F
	v_mfma_f32_16x16x32_fp8_fp8 v[92:95], a[76:77], v[40:41], v[92:95]// 000000007758: D3F3005C 0D72514C
	v_mfma_f32_16x16x32_fp8_fp8 v[96:99], a[92:93], v[40:41], v[96:99]// 000000007760: D3F30060 0D82515C
	v_mfma_f32_16x16x32_fp8_fp8 v[92:95], a[78:79], v[42:43], v[92:95]// 000000007768: D3F3005C 0D72554E
	buffer_load_dwordx4 a[108:111], v207, s[16:19], 0 offen    // 000000007770: E05C1000 80846CCF
	v_mfma_f32_16x16x32_fp8_fp8 v[96:99], a[94:95], v[42:43], v[96:99]// 000000007778: D3F30060 0D82555E
	s_waitcnt lgkmcnt(3)                                       // 000000007780: BF8CC37F
	v_mfma_f32_16x16x32_fp8_fp8 v[100:103], a[64:65], v[44:45], 0// 000000007784: D3F30064 0A025940
	v_mfma_f32_16x16x32_fp8_fp8 v[104:107], a[80:81], v[44:45], 0// 00000000778C: D3F30068 0A025950
	v_mfma_f32_16x16x32_fp8_fp8 v[100:103], a[66:67], v[46:47], v[100:103]// 000000007794: D3F30064 0D925D42
	buffer_load_dwordx4 a[112:115], v204, s[16:19], 0 offen offset:1024// 00000000779C: E05C1400 808470CC
	v_mfma_f32_16x16x32_fp8_fp8 v[104:107], a[82:83], v[46:47], v[104:107]// 0000000077A4: D3F30068 0DA25D52
	s_waitcnt lgkmcnt(2)                                       // 0000000077AC: BF8CC27F
	v_mfma_f32_16x16x32_fp8_fp8 v[100:103], a[68:69], v[48:49], v[100:103]// 0000000077B0: D3F30064 0D926144
	v_mfma_f32_16x16x32_fp8_fp8 v[104:107], a[84:85], v[48:49], v[104:107]// 0000000077B8: D3F30068 0DA26154
	v_mfma_f32_16x16x32_fp8_fp8 v[100:103], a[70:71], v[50:51], v[100:103]// 0000000077C0: D3F30064 0D926546
	buffer_load_dwordx4 a[116:119], v205, s[16:19], 0 offen offset:1024// 0000000077C8: E05C1400 808474CD
	v_mfma_f32_16x16x32_fp8_fp8 v[104:107], a[86:87], v[50:51], v[104:107]// 0000000077D0: D3F30068 0DA26556
	s_waitcnt lgkmcnt(1)                                       // 0000000077D8: BF8CC17F
	v_mfma_f32_16x16x32_fp8_fp8 v[100:103], a[72:73], v[52:53], v[100:103]// 0000000077DC: D3F30064 0D926948
	v_mfma_f32_16x16x32_fp8_fp8 v[104:107], a[88:89], v[52:53], v[104:107]// 0000000077E4: D3F30068 0DA26958
	v_mfma_f32_16x16x32_fp8_fp8 v[100:103], a[74:75], v[54:55], v[100:103]// 0000000077EC: D3F30064 0D926D4A
	buffer_load_dwordx4 a[120:123], v206, s[16:19], 0 offen offset:1024// 0000000077F4: E05C1400 808478CE
	v_mfma_f32_16x16x32_fp8_fp8 v[104:107], a[90:91], v[54:55], v[104:107]// 0000000077FC: D3F30068 0DA26D5A
	s_waitcnt lgkmcnt(0)                                       // 000000007804: BF8CC07F
	v_mfma_f32_16x16x32_fp8_fp8 v[100:103], a[76:77], v[56:57], v[100:103]// 000000007808: D3F30064 0D92714C
	v_mfma_f32_16x16x32_fp8_fp8 v[104:107], a[92:93], v[56:57], v[104:107]// 000000007810: D3F30068 0DA2715C
	v_mfma_f32_16x16x32_fp8_fp8 v[100:103], a[78:79], v[58:59], v[100:103]// 000000007818: D3F30064 0D92754E
	buffer_load_dwordx4 a[124:127], v207, s[16:19], 0 offen offset:1024// 000000007820: E05C1400 80847CCF
	v_mfma_f32_16x16x32_fp8_fp8 v[104:107], a[94:95], v[58:59], v[104:107]// 000000007828: D3F30068 0DA2755E
	s_load_dword s59, s[42:43], s68                            // 000000007830: C0000ED5 00000044
	s_addk_i32 s64, 0x100                                      // 000000007838: B7400100
	s_cmp_lt_i32 s64, s63                                      // 00000000783C: BF043F40
	s_cbranch_scc0 label_23E7                                  // 000000007840: BF840FD6
	s_waitcnt vmcnt(10)                                        // 000000007844: BF8C0F7A
	v_mfma_f32_16x16x32_fp8_fp8 v[28:31], a[32:33], v[12:13], 0// 000000007848: D3F3001C 0A021920
	s_add_u32 s12, s86, s69                                    // 000000007850: 800C4556
	s_addc_u32 s13, s87, 0                                     // 000000007854: 820D8057
	v_mfma_f32_16x16x32_fp8_fp8 v[28:31], a[34:35], v[14:15], v[28:31]// 000000007858: D3F3001C 0C721D22
	s_add_u32 s16, s88, s70                                    // 000000007860: 80104658
	s_addc_u32 s17, s89, 0                                     // 000000007864: 82118059
	v_mfma_f32_16x16x32_fp8_fp8 v[28:31], a[36:37], v[16:17], v[28:31]// 000000007868: D3F3001C 0C722124
	buffer_load_dwordx4 a[0:3], v202, s[12:15], 0 offen        // 000000007870: E05C1000 808300CA
	v_mfma_f32_16x16x32_fp8_fp8 v[28:31], a[38:39], v[18:19], v[28:31]// 000000007878: D3F3001C 0C722526
	s_add_u32 s20, s90, s71                                    // 000000007880: 8014475A
	s_addc_u32 s21, s91, 0                                     // 000000007884: 8215805B
	v_mfma_f32_16x16x32_fp8_fp8 v[32:35], a[40:41], v[12:13], 0// 000000007888: D3F30020 0A021928
	s_add_u32 s24, s92, s71                                    // 000000007890: 8018475C
	s_addc_u32 s25, s93, 0                                     // 000000007894: 8219805D
	v_mfma_f32_16x16x32_fp8_fp8 v[32:35], a[42:43], v[14:15], v[32:35]// 000000007898: D3F30020 0C821D2A
	s_add_u32 s69, s69, 0x1000                                 // 0000000078A0: 8045FF45 00001000
	s_add_u32 s70, s70, 0x8000                                 // 0000000078A8: 8046FF46 00008000
	v_mfma_f32_16x16x32_fp8_fp8 v[32:35], a[44:45], v[16:17], v[32:35]// 0000000078B0: D3F30020 0C82212C
	buffer_load_dwordx4 a[4:7], v203, s[12:15], 0 offen        // 0000000078B8: E05C1000 808304CB
	v_mfma_f32_16x16x32_fp8_fp8 v[32:35], a[46:47], v[18:19], v[32:35]// 0000000078C0: D3F30020 0C82252E
	s_add_u32 s71, s71, 0x400                                  // 0000000078C8: 8047FF47 00000400
	v_mfma_f32_16x16x32_fp8_fp8 v[36:39], a[48:49], v[12:13], 0// 0000000078D0: D3F30024 0A021930
	v_mfma_f32_16x16x32_fp8_fp8 v[36:39], a[50:51], v[14:15], v[36:39]// 0000000078D8: D3F30024 0C921D32
	v_mfma_f32_16x16x32_fp8_fp8 v[36:39], a[52:53], v[16:17], v[36:39]// 0000000078E0: D3F30024 0C922134
	buffer_load_dwordx4 a[8:11], v202, s[12:15], 0 offen offset:1024// 0000000078E8: E05C1400 808308CA
	v_mfma_f32_16x16x32_fp8_fp8 v[36:39], a[54:55], v[18:19], v[36:39]// 0000000078F0: D3F30024 0C922536
	v_mfma_f32_16x16x32_fp8_fp8 v[40:43], a[56:57], v[12:13], 0// 0000000078F8: D3F30028 0A021938
	v_mfma_f32_16x16x32_fp8_fp8 v[40:43], a[58:59], v[14:15], v[40:43]// 000000007900: D3F30028 0CA21D3A
	v_mfma_f32_16x16x32_fp8_fp8 v[40:43], a[60:61], v[16:17], v[40:43]// 000000007908: D3F30028 0CA2213C
	buffer_load_dwordx4 a[12:15], v203, s[12:15], 0 offen offset:1024// 000000007910: E05C1400 80830CCB
	v_mfma_f32_16x16x32_fp8_fp8 v[40:43], a[62:63], v[18:19], v[40:43]// 000000007918: D3F30028 0CA2253E
	v_mfma_f32_16x16x32_fp8_fp8 v[44:47], a[32:33], v[20:21], 0// 000000007920: D3F3002C 0A022920
	v_mfma_f32_16x16x32_fp8_fp8 v[44:47], a[34:35], v[22:23], v[44:47]// 000000007928: D3F3002C 0CB22D22
	v_mfma_f32_16x16x32_fp8_fp8 v[44:47], a[36:37], v[24:25], v[44:47]// 000000007930: D3F3002C 0CB23124
	buffer_load_dwordx4 a[16:19], v202, s[12:15], 0 offen offset:2048// 000000007938: E05C1800 808310CA
	v_mfma_f32_16x16x32_fp8_fp8 v[44:47], a[38:39], v[26:27], v[44:47]// 000000007940: D3F3002C 0CB23526
	v_mfma_f32_16x16x32_fp8_fp8 v[48:51], a[40:41], v[20:21], 0// 000000007948: D3F30030 0A022928
	v_mfma_f32_16x16x32_fp8_fp8 v[48:51], a[42:43], v[22:23], v[48:51]// 000000007950: D3F30030 0CC22D2A
	v_mfma_f32_16x16x32_fp8_fp8 v[48:51], a[44:45], v[24:25], v[48:51]// 000000007958: D3F30030 0CC2312C
	buffer_load_dwordx4 a[20:23], v203, s[12:15], 0 offen offset:2048// 000000007960: E05C1800 808314CB
	v_mfma_f32_16x16x32_fp8_fp8 v[48:51], a[46:47], v[26:27], v[48:51]// 000000007968: D3F30030 0CC2352E
	v_mfma_f32_16x16x32_fp8_fp8 v[52:55], a[48:49], v[20:21], 0// 000000007970: D3F30034 0A022930
	v_mfma_f32_16x16x32_fp8_fp8 v[52:55], a[50:51], v[22:23], v[52:55]// 000000007978: D3F30034 0CD22D32
	v_mfma_f32_16x16x32_fp8_fp8 v[52:55], a[52:53], v[24:25], v[52:55]// 000000007980: D3F30034 0CD23134
	buffer_load_dwordx4 a[24:27], v202, s[12:15], 0 offen offset:3072// 000000007988: E05C1C00 808318CA
	v_mfma_f32_16x16x32_fp8_fp8 v[52:55], a[54:55], v[26:27], v[52:55]// 000000007990: D3F30034 0CD23536
	v_mfma_f32_16x16x32_fp8_fp8 v[56:59], a[56:57], v[20:21], 0// 000000007998: D3F30038 0A022938
	v_mfma_f32_16x16x32_fp8_fp8 v[56:59], a[58:59], v[22:23], v[56:59]// 0000000079A0: D3F30038 0CE22D3A
	v_mfma_f32_16x16x32_fp8_fp8 v[56:59], a[60:61], v[24:25], v[56:59]// 0000000079A8: D3F30038 0CE2313C
	buffer_load_dwordx4 a[28:31], v203, s[12:15], 0 offen offset:3072// 0000000079B0: E05C1C00 80831CCB
	v_mfma_f32_16x16x32_fp8_fp8 v[56:59], a[62:63], v[26:27], v[56:59]// 0000000079B8: D3F30038 0CE2353E
	s_waitcnt vmcnt(16)                                        // 0000000079C0: BF8C4F70
	v_pk_mul_f32 v[28:29], v[124:125], v[28:29]                // 0000000079C4: D3B1401C 1802397C
	v_pk_mul_f32 v[30:31], v[124:125], v[30:31]                // 0000000079CC: D3B1401E 18023D7C
	v_mul_f32_dpp v28, v129, v28 row_newbcast:0 row_mask:0xf bank_mask:0xf// 0000000079D4: 0A3838FA FF015081
	v_mul_f32_dpp v29, v129, v29 row_newbcast:1 row_mask:0xf bank_mask:0xf// 0000000079DC: 0A3A3AFA FF015181
	v_mul_f32_dpp v30, v129, v30 row_newbcast:2 row_mask:0xf bank_mask:0xf// 0000000079E4: 0A3C3CFA FF015281
	v_mul_f32_dpp v31, v129, v31 row_newbcast:3 row_mask:0xf bank_mask:0xf// 0000000079EC: 0A3E3EFA FF015381
	v_pk_mul_f32 v[32:33], v[124:125], v[32:33]                // 0000000079F4: D3B14020 1802417C
	v_pk_mul_f32 v[34:35], v[124:125], v[34:35]                // 0000000079FC: D3B14022 1802457C
	v_mul_f32_dpp v32, v129, v32 row_newbcast:4 row_mask:0xf bank_mask:0xf// 000000007A04: 0A4040FA FF015481
	v_mul_f32_dpp v33, v129, v33 row_newbcast:5 row_mask:0xf bank_mask:0xf// 000000007A0C: 0A4242FA FF015581
	v_mul_f32_dpp v34, v129, v34 row_newbcast:6 row_mask:0xf bank_mask:0xf// 000000007A14: 0A4444FA FF015681
	v_mul_f32_dpp v35, v129, v35 row_newbcast:7 row_mask:0xf bank_mask:0xf// 000000007A1C: 0A4646FA FF015781
	v_pk_mul_f32 v[36:37], v[124:125], v[36:37]                // 000000007A24: D3B14024 1802497C
	v_pk_mul_f32 v[38:39], v[124:125], v[38:39]                // 000000007A2C: D3B14026 18024D7C
	v_mul_f32_dpp v36, v129, v36 row_newbcast:8 row_mask:0xf bank_mask:0xf// 000000007A34: 0A4848FA FF015881
	v_mul_f32_dpp v37, v129, v37 row_newbcast:9 row_mask:0xf bank_mask:0xf// 000000007A3C: 0A4A4AFA FF015981
	v_mul_f32_dpp v38, v129, v38 row_newbcast:10 row_mask:0xf bank_mask:0xf// 000000007A44: 0A4C4CFA FF015A81
	v_mul_f32_dpp v39, v129, v39 row_newbcast:11 row_mask:0xf bank_mask:0xf// 000000007A4C: 0A4E4EFA FF015B81
	v_pk_mul_f32 v[40:41], v[124:125], v[40:41]                // 000000007A54: D3B14028 1802517C
	v_pk_mul_f32 v[42:43], v[124:125], v[42:43]                // 000000007A5C: D3B1402A 1802557C
	v_mul_f32_dpp v40, v129, v40 row_newbcast:12 row_mask:0xf bank_mask:0xf// 000000007A64: 0A5050FA FF015C81
	v_mul_f32_dpp v41, v129, v41 row_newbcast:13 row_mask:0xf bank_mask:0xf// 000000007A6C: 0A5252FA FF015D81
	v_mul_f32_dpp v42, v129, v42 row_newbcast:14 row_mask:0xf bank_mask:0xf// 000000007A74: 0A5454FA FF015E81
	v_mul_f32_dpp v43, v129, v43 row_newbcast:15 row_mask:0xf bank_mask:0xf// 000000007A7C: 0A5656FA FF015F81
	v_pk_mul_f32 v[44:45], v[126:127], v[44:45]                // 000000007A84: D3B1402C 1802597E
	v_pk_mul_f32 v[46:47], v[126:127], v[46:47]                // 000000007A8C: D3B1402E 18025D7E
	v_mul_f32_dpp v44, v129, v44 row_newbcast:0 row_mask:0xf bank_mask:0xf// 000000007A94: 0A5858FA FF015081
	v_mul_f32_dpp v45, v129, v45 row_newbcast:1 row_mask:0xf bank_mask:0xf// 000000007A9C: 0A5A5AFA FF015181
	v_mul_f32_dpp v46, v129, v46 row_newbcast:2 row_mask:0xf bank_mask:0xf// 000000007AA4: 0A5C5CFA FF015281
	v_mul_f32_dpp v47, v129, v47 row_newbcast:3 row_mask:0xf bank_mask:0xf// 000000007AAC: 0A5E5EFA FF015381
	v_pk_mul_f32 v[48:49], v[126:127], v[48:49]                // 000000007AB4: D3B14030 1802617E
	v_pk_mul_f32 v[50:51], v[126:127], v[50:51]                // 000000007ABC: D3B14032 1802657E
	v_mul_f32_dpp v48, v129, v48 row_newbcast:4 row_mask:0xf bank_mask:0xf// 000000007AC4: 0A6060FA FF015481
	v_mul_f32_dpp v49, v129, v49 row_newbcast:5 row_mask:0xf bank_mask:0xf// 000000007ACC: 0A6262FA FF015581
	v_mul_f32_dpp v50, v129, v50 row_newbcast:6 row_mask:0xf bank_mask:0xf// 000000007AD4: 0A6464FA FF015681
	v_mul_f32_dpp v51, v129, v51 row_newbcast:7 row_mask:0xf bank_mask:0xf// 000000007ADC: 0A6666FA FF015781
	v_pk_mul_f32 v[52:53], v[126:127], v[52:53]                // 000000007AE4: D3B14034 1802697E
	v_pk_mul_f32 v[54:55], v[126:127], v[54:55]                // 000000007AEC: D3B14036 18026D7E
	v_mul_f32_dpp v52, v129, v52 row_newbcast:8 row_mask:0xf bank_mask:0xf// 000000007AF4: 0A6868FA FF015881
	v_mul_f32_dpp v53, v129, v53 row_newbcast:9 row_mask:0xf bank_mask:0xf// 000000007AFC: 0A6A6AFA FF015981
	v_mul_f32_dpp v54, v129, v54 row_newbcast:10 row_mask:0xf bank_mask:0xf// 000000007B04: 0A6C6CFA FF015A81
	v_mul_f32_dpp v55, v129, v55 row_newbcast:11 row_mask:0xf bank_mask:0xf// 000000007B0C: 0A6E6EFA FF015B81
	v_pk_mul_f32 v[56:57], v[126:127], v[56:57]                // 000000007B14: D3B14038 1802717E
	v_pk_mul_f32 v[58:59], v[126:127], v[58:59]                // 000000007B1C: D3B1403A 1802757E
	v_mul_f32_dpp v56, v129, v56 row_newbcast:12 row_mask:0xf bank_mask:0xf// 000000007B24: 0A7070FA FF015C81
	v_mul_f32_dpp v57, v129, v57 row_newbcast:13 row_mask:0xf bank_mask:0xf// 000000007B2C: 0A7272FA FF015D81
	v_mul_f32_dpp v58, v129, v58 row_newbcast:14 row_mask:0xf bank_mask:0xf// 000000007B34: 0A7474FA FF015E81
	v_mul_f32_dpp v59, v129, v59 row_newbcast:15 row_mask:0xf bank_mask:0xf// 000000007B3C: 0A7676FA FF015F81
	v_mov_b32_e32 v150, v28                                    // 000000007B44: 7F2C031C
	v_max3_f32 v150, v28, v29, v150                            // 000000007B48: D1D30096 065A3B1C
	v_max3_f32 v150, v30, v31, v150                            // 000000007B50: D1D30096 065A3F1E
	v_max3_f32 v150, v32, v33, v150                            // 000000007B58: D1D30096 065A4320
	v_max3_f32 v150, v34, v35, v150                            // 000000007B60: D1D30096 065A4722
	v_max3_f32 v150, v36, v37, v150                            // 000000007B68: D1D30096 065A4B24
	v_max3_f32 v150, v38, v39, v150                            // 000000007B70: D1D30096 065A4F26
	v_max3_f32 v150, v40, v41, v150                            // 000000007B78: D1D30096 065A5328
	v_max3_f32 v150, v42, v43, v150                            // 000000007B80: D1D30096 065A572A
	v_mov_b32_e32 v151, v44                                    // 000000007B88: 7F2E032C
	v_max3_f32 v151, v44, v45, v151                            // 000000007B8C: D1D30097 065E5B2C
	v_max3_f32 v151, v46, v47, v151                            // 000000007B94: D1D30097 065E5F2E
	v_max3_f32 v151, v48, v49, v151                            // 000000007B9C: D1D30097 065E6330
	v_max3_f32 v151, v50, v51, v151                            // 000000007BA4: D1D30097 065E6732
	v_max3_f32 v151, v52, v53, v151                            // 000000007BAC: D1D30097 065E6B34
	v_max3_f32 v151, v54, v55, v151                            // 000000007BB4: D1D30097 065E6F36
	v_max3_f32 v151, v56, v57, v151                            // 000000007BBC: D1D30097 065E7338
	v_max3_f32 v151, v58, v59, v151                            // 000000007BC4: D1D30097 065E773A
	ds_write_b64 v220, v[150:151]                              // 000000007BCC: D89A0000 000096DC
	v_pk_mul_f32 v[108:109], v[142:143], v[108:109]            // 000000007BD4: D3B1406C 1802D98E
	v_pk_mul_f32 v[110:111], v[142:143], v[110:111]            // 000000007BDC: D3B1406E 1802DD8E
	v_pk_mul_f32 v[112:113], v[142:143], v[112:113]            // 000000007BE4: D3B14070 1802E18E
	v_pk_mul_f32 v[114:115], v[142:143], v[114:115]            // 000000007BEC: D3B14072 1802E58E
	v_pk_mul_f32 v[116:117], v[144:145], v[116:117]            // 000000007BF4: D3B14074 1802E990
	v_pk_mul_f32 v[118:119], v[144:145], v[118:119]            // 000000007BFC: D3B14076 1802ED90
	v_pk_mul_f32 v[120:121], v[144:145], v[120:121]            // 000000007C04: D3B14078 1802F190
	v_pk_mul_f32 v[122:123], v[144:145], v[122:123]            // 000000007C0C: D3B1407A 1802F590
	s_waitcnt lgkmcnt(0)                                       // 000000007C14: BF8CC07F
	s_barrier                                                  // 000000007C18: BF8A0000
	v_pk_mul_f32 v[92:93], v[132:133], v[92:93]                // 000000007C1C: D3B1405C 1802B984
	v_pk_mul_f32 v[94:95], v[132:133], v[94:95]                // 000000007C24: D3B1405E 1802BD84
	v_pk_mul_f32 v[96:97], v[132:133], v[96:97]                // 000000007C2C: D3B14060 1802C184
	v_pk_mul_f32 v[98:99], v[132:133], v[98:99]                // 000000007C34: D3B14062 1802C584
	v_pk_mul_f32 v[100:101], v[134:135], v[100:101]            // 000000007C3C: D3B14064 1802C986
	v_pk_mul_f32 v[102:103], v[134:135], v[102:103]            // 000000007C44: D3B14066 1802CD86
	v_pk_mul_f32 v[104:105], v[134:135], v[104:105]            // 000000007C4C: D3B14068 1802D186
	v_pk_mul_f32 v[106:107], v[134:135], v[106:107]            // 000000007C54: D3B1406A 1802D586
	ds_read_b64 v[154:155], v221                               // 000000007C5C: D8EC0000 9A0000DD
	ds_read_b64 v[156:157], v221 offset:128                    // 000000007C64: D8EC0080 9C0000DD
	ds_read_b64 v[158:159], v221 offset:256                    // 000000007C6C: D8EC0100 9E0000DD
	ds_read_b64 v[160:161], v221 offset:384                    // 000000007C74: D8EC0180 A00000DD
	ds_read_b64 v[162:163], v221 offset:512                    // 000000007C7C: D8EC0200 A20000DD
	ds_read_b64 v[164:165], v221 offset:640                    // 000000007C84: D8EC0280 A40000DD
	ds_read_b64 v[166:167], v221 offset:768                    // 000000007C8C: D8EC0300 A60000DD
	ds_read_b64 v[168:169], v221 offset:896                    // 000000007C94: D8EC0380 A80000DD
	ds_read_b64 v[170:171], v221 offset:1024                   // 000000007C9C: D8EC0400 AA0000DD
	ds_read_b64 v[172:173], v221 offset:1152                   // 000000007CA4: D8EC0480 AC0000DD
	ds_read_b64 v[174:175], v221 offset:1280                   // 000000007CAC: D8EC0500 AE0000DD
	ds_read_b64 v[176:177], v221 offset:1408                   // 000000007CB4: D8EC0580 B00000DD
	ds_read_b64 v[178:179], v221 offset:1536                   // 000000007CBC: D8EC0600 B20000DD
	ds_read_b64 v[180:181], v221 offset:1664                   // 000000007CC4: D8EC0680 B40000DD
	ds_read_b64 v[182:183], v221 offset:1792                   // 000000007CCC: D8EC0700 B60000DD
	ds_read_b64 v[184:185], v221 offset:1920                   // 000000007CD4: D8EC0780 B80000DD
	s_waitcnt lgkmcnt(0)                                       // 000000007CDC: BF8CC07F
	v_max3_f32 v150, v154, v156, v150                          // 000000007CE0: D1D30096 065B399A
	v_max3_f32 v151, v155, v157, v151                          // 000000007CE8: D1D30097 065F3B9B
	v_max3_f32 v150, v158, v160, v150                          // 000000007CF0: D1D30096 065B419E
	v_max3_f32 v151, v159, v161, v151                          // 000000007CF8: D1D30097 065F439F
	v_max3_f32 v150, v162, v164, v150                          // 000000007D00: D1D30096 065B49A2
	v_max3_f32 v151, v163, v165, v151                          // 000000007D08: D1D30097 065F4BA3
	v_max3_f32 v150, v166, v168, v150                          // 000000007D10: D1D30096 065B51A6
	v_max3_f32 v151, v167, v169, v151                          // 000000007D18: D1D30097 065F53A7
	v_max3_f32 v150, v170, v172, v150                          // 000000007D20: D1D30096 065B59AA
	v_max3_f32 v151, v171, v173, v151                          // 000000007D28: D1D30097 065F5BAB
	v_max3_f32 v150, v174, v176, v150                          // 000000007D30: D1D30096 065B61AE
	v_max3_f32 v151, v175, v177, v151                          // 000000007D38: D1D30097 065F63AF
	v_max3_f32 v150, v178, v180, v150                          // 000000007D40: D1D30096 065B69B2
	v_max3_f32 v151, v179, v181, v151                          // 000000007D48: D1D30097 065F6BB3
	v_max3_f32 v150, v182, v184, v150                          // 000000007D50: D1D30096 065B71B6
	v_max3_f32 v151, v183, v185, v151                          // 000000007D58: D1D30097 065F73B7
	v_max_f32_e32 v140, v150, v138                             // 000000007D60: 17191596
	v_mul_f32_e64 v186, -s46, v140                             // 000000007D64: D10500BA 2003182E
	v_mov_b32_e32 v187, v186                                   // 000000007D6C: 7F7603BA
	v_pk_fma_f32 v[28:29], v[28:29], s[46:47], v[186:187]      // 000000007D70: D3B0401C 1EE85D1C
	v_pk_fma_f32 v[30:31], v[30:31], s[46:47], v[186:187]      // 000000007D78: D3B0401E 1EE85D1E
	v_exp_f32_e32 v28, v28                                     // 000000007D80: 7E38411C
	v_exp_f32_e32 v29, v29                                     // 000000007D84: 7E3A411D
	v_exp_f32_e32 v30, v30                                     // 000000007D88: 7E3C411E
	v_exp_f32_e32 v31, v31                                     // 000000007D8C: 7E3E411F
	v_pk_fma_f32 v[32:33], v[32:33], s[46:47], v[186:187]      // 000000007D90: D3B04020 1EE85D20
	v_pk_fma_f32 v[34:35], v[34:35], s[46:47], v[186:187]      // 000000007D98: D3B04022 1EE85D22
	v_exp_f32_e32 v32, v32                                     // 000000007DA0: 7E404120
	v_exp_f32_e32 v33, v33                                     // 000000007DA4: 7E424121
	v_exp_f32_e32 v34, v34                                     // 000000007DA8: 7E444122
	v_exp_f32_e32 v35, v35                                     // 000000007DAC: 7E464123
	v_pk_fma_f32 v[36:37], v[36:37], s[46:47], v[186:187]      // 000000007DB0: D3B04024 1EE85D24
	v_pk_fma_f32 v[38:39], v[38:39], s[46:47], v[186:187]      // 000000007DB8: D3B04026 1EE85D26
	v_exp_f32_e32 v36, v36                                     // 000000007DC0: 7E484124
	v_exp_f32_e32 v37, v37                                     // 000000007DC4: 7E4A4125
	v_exp_f32_e32 v38, v38                                     // 000000007DC8: 7E4C4126
	v_exp_f32_e32 v39, v39                                     // 000000007DCC: 7E4E4127
	v_pk_fma_f32 v[40:41], v[40:41], s[46:47], v[186:187]      // 000000007DD0: D3B04028 1EE85D28
	v_pk_fma_f32 v[42:43], v[42:43], s[46:47], v[186:187]      // 000000007DD8: D3B0402A 1EE85D2A
	v_exp_f32_e32 v40, v40                                     // 000000007DE0: 7E504128
	v_exp_f32_e32 v41, v41                                     // 000000007DE4: 7E524129
	v_exp_f32_e32 v42, v42                                     // 000000007DE8: 7E54412A
	v_exp_f32_e32 v43, v43                                     // 000000007DEC: 7E56412B
	v_max_f32_e32 v141, v151, v139                             // 000000007DF0: 171B1797
	v_mul_f32_e64 v186, -s46, v141                             // 000000007DF4: D10500BA 20031A2E
	v_mov_b32_e32 v187, v186                                   // 000000007DFC: 7F7603BA
	v_pk_fma_f32 v[44:45], v[44:45], s[46:47], v[186:187]      // 000000007E00: D3B0402C 1EE85D2C
	v_pk_fma_f32 v[46:47], v[46:47], s[46:47], v[186:187]      // 000000007E08: D3B0402E 1EE85D2E
	v_exp_f32_e32 v44, v44                                     // 000000007E10: 7E58412C
	v_exp_f32_e32 v45, v45                                     // 000000007E14: 7E5A412D
	v_exp_f32_e32 v46, v46                                     // 000000007E18: 7E5C412E
	v_exp_f32_e32 v47, v47                                     // 000000007E1C: 7E5E412F
	v_pk_fma_f32 v[48:49], v[48:49], s[46:47], v[186:187]      // 000000007E20: D3B04030 1EE85D30
	v_pk_fma_f32 v[50:51], v[50:51], s[46:47], v[186:187]      // 000000007E28: D3B04032 1EE85D32
	v_exp_f32_e32 v48, v48                                     // 000000007E30: 7E604130
	v_exp_f32_e32 v49, v49                                     // 000000007E34: 7E624131
	v_exp_f32_e32 v50, v50                                     // 000000007E38: 7E644132
	v_exp_f32_e32 v51, v51                                     // 000000007E3C: 7E664133
	v_pk_fma_f32 v[52:53], v[52:53], s[46:47], v[186:187]      // 000000007E40: D3B04034 1EE85D34
	v_pk_fma_f32 v[54:55], v[54:55], s[46:47], v[186:187]      // 000000007E48: D3B04036 1EE85D36
	v_exp_f32_e32 v52, v52                                     // 000000007E50: 7E684134
	v_exp_f32_e32 v53, v53                                     // 000000007E54: 7E6A4135
	v_exp_f32_e32 v54, v54                                     // 000000007E58: 7E6C4136
	v_exp_f32_e32 v55, v55                                     // 000000007E5C: 7E6E4137
	v_pk_fma_f32 v[56:57], v[56:57], s[46:47], v[186:187]      // 000000007E60: D3B04038 1EE85D38
	v_pk_fma_f32 v[58:59], v[58:59], s[46:47], v[186:187]      // 000000007E68: D3B0403A 1EE85D3A
	v_exp_f32_e32 v56, v56                                     // 000000007E70: 7E704138
	v_exp_f32_e32 v57, v57                                     // 000000007E74: 7E724139
	v_exp_f32_e32 v58, v58                                     // 000000007E78: 7E74413A
	v_exp_f32_e32 v59, v59                                     // 000000007E7C: 7E76413B
	v_mul_f32_dpp v60, v131, v28 row_newbcast:0 row_mask:0xf bank_mask:0xf// 000000007E80: 0A7838FA FF015083
	v_mul_f32_dpp v61, v131, v29 row_newbcast:1 row_mask:0xf bank_mask:0xf// 000000007E88: 0A7A3AFA FF015183
	v_mul_f32_dpp v62, v131, v30 row_newbcast:2 row_mask:0xf bank_mask:0xf// 000000007E90: 0A7C3CFA FF015283
	v_mul_f32_dpp v63, v131, v31 row_newbcast:3 row_mask:0xf bank_mask:0xf// 000000007E98: 0A7E3EFA FF015383
	v_mul_f32_dpp v64, v131, v32 row_newbcast:4 row_mask:0xf bank_mask:0xf// 000000007EA0: 0A8040FA FF015483
	v_mul_f32_dpp v65, v131, v33 row_newbcast:5 row_mask:0xf bank_mask:0xf// 000000007EA8: 0A8242FA FF015583
	v_mul_f32_dpp v66, v131, v34 row_newbcast:6 row_mask:0xf bank_mask:0xf// 000000007EB0: 0A8444FA FF015683
	v_mul_f32_dpp v67, v131, v35 row_newbcast:7 row_mask:0xf bank_mask:0xf// 000000007EB8: 0A8646FA FF015783
	v_mul_f32_dpp v68, v131, v36 row_newbcast:8 row_mask:0xf bank_mask:0xf// 000000007EC0: 0A8848FA FF015883
	v_mul_f32_dpp v69, v131, v37 row_newbcast:9 row_mask:0xf bank_mask:0xf// 000000007EC8: 0A8A4AFA FF015983
	v_mul_f32_dpp v70, v131, v38 row_newbcast:10 row_mask:0xf bank_mask:0xf// 000000007ED0: 0A8C4CFA FF015A83
	v_mul_f32_dpp v71, v131, v39 row_newbcast:11 row_mask:0xf bank_mask:0xf// 000000007ED8: 0A8E4EFA FF015B83
	v_mul_f32_dpp v72, v131, v40 row_newbcast:12 row_mask:0xf bank_mask:0xf// 000000007EE0: 0A9050FA FF015C83
	v_mul_f32_dpp v73, v131, v41 row_newbcast:13 row_mask:0xf bank_mask:0xf// 000000007EE8: 0A9252FA FF015D83
	v_mul_f32_dpp v74, v131, v42 row_newbcast:14 row_mask:0xf bank_mask:0xf// 000000007EF0: 0A9454FA FF015E83
	v_mul_f32_dpp v75, v131, v43 row_newbcast:15 row_mask:0xf bank_mask:0xf// 000000007EF8: 0A9656FA FF015F83
	v_mul_f32_dpp v76, v131, v44 row_newbcast:0 row_mask:0xf bank_mask:0xf// 000000007F00: 0A9858FA FF015083
	v_mul_f32_dpp v77, v131, v45 row_newbcast:1 row_mask:0xf bank_mask:0xf// 000000007F08: 0A9A5AFA FF015183
	v_mul_f32_dpp v78, v131, v46 row_newbcast:2 row_mask:0xf bank_mask:0xf// 000000007F10: 0A9C5CFA FF015283
	v_mul_f32_dpp v79, v131, v47 row_newbcast:3 row_mask:0xf bank_mask:0xf// 000000007F18: 0A9E5EFA FF015383
	v_mul_f32_dpp v80, v131, v48 row_newbcast:4 row_mask:0xf bank_mask:0xf// 000000007F20: 0AA060FA FF015483
	v_mul_f32_dpp v81, v131, v49 row_newbcast:5 row_mask:0xf bank_mask:0xf// 000000007F28: 0AA262FA FF015583
	v_mul_f32_dpp v82, v131, v50 row_newbcast:6 row_mask:0xf bank_mask:0xf// 000000007F30: 0AA464FA FF015683
	v_mul_f32_dpp v83, v131, v51 row_newbcast:7 row_mask:0xf bank_mask:0xf// 000000007F38: 0AA666FA FF015783
	v_mul_f32_dpp v84, v131, v52 row_newbcast:8 row_mask:0xf bank_mask:0xf// 000000007F40: 0AA868FA FF015883
	v_mul_f32_dpp v85, v131, v53 row_newbcast:9 row_mask:0xf bank_mask:0xf// 000000007F48: 0AAA6AFA FF015983
	v_mul_f32_dpp v86, v131, v54 row_newbcast:10 row_mask:0xf bank_mask:0xf// 000000007F50: 0AAC6CFA FF015A83
	v_mul_f32_dpp v87, v131, v55 row_newbcast:11 row_mask:0xf bank_mask:0xf// 000000007F58: 0AAE6EFA FF015B83
	v_mul_f32_dpp v88, v131, v56 row_newbcast:12 row_mask:0xf bank_mask:0xf// 000000007F60: 0AB070FA FF015C83
	v_mul_f32_dpp v89, v131, v57 row_newbcast:13 row_mask:0xf bank_mask:0xf// 000000007F68: 0AB272FA FF015D83
	v_mul_f32_dpp v90, v131, v58 row_newbcast:14 row_mask:0xf bank_mask:0xf// 000000007F70: 0AB474FA FF015E83
	v_mul_f32_dpp v91, v131, v59 row_newbcast:15 row_mask:0xf bank_mask:0xf// 000000007F78: 0AB676FA FF015F83
	v_mov_b32_e32 v150, 0x358637bd                             // 000000007F80: 7F2C02FF 358637BD
	v_max3_f32 v150, |v60|, |v61|, v150                        // 000000007F88: D1D30396 065A7B3C
	v_max3_f32 v150, |v62|, |v63|, v150                        // 000000007F90: D1D30396 065A7F3E
	v_max3_f32 v150, |v64|, |v65|, v150                        // 000000007F98: D1D30396 065A8340
	v_max3_f32 v150, |v66|, |v67|, v150                        // 000000007FA0: D1D30396 065A8742
	v_max3_f32 v150, |v68|, |v69|, v150                        // 000000007FA8: D1D30396 065A8B44
	v_max3_f32 v150, |v70|, |v71|, v150                        // 000000007FB0: D1D30396 065A8F46
	v_max3_f32 v150, |v72|, |v73|, v150                        // 000000007FB8: D1D30396 065A9348
	v_max3_f32 v150, |v74|, |v75|, v150                        // 000000007FC0: D1D30396 065A974A
	v_mov_b32_e32 v151, 0x358637bd                             // 000000007FC8: 7F2E02FF 358637BD
	v_max3_f32 v151, |v76|, |v77|, v151                        // 000000007FD0: D1D30397 065E9B4C
	v_max3_f32 v151, |v78|, |v79|, v151                        // 000000007FD8: D1D30397 065E9F4E
	v_max3_f32 v151, |v80|, |v81|, v151                        // 000000007FE0: D1D30397 065EA350
	v_max3_f32 v151, |v82|, |v83|, v151                        // 000000007FE8: D1D30397 065EA752
	v_max3_f32 v151, |v84|, |v85|, v151                        // 000000007FF0: D1D30397 065EAB54
	v_max3_f32 v151, |v86|, |v87|, v151                        // 000000007FF8: D1D30397 065EAF56
	v_max3_f32 v151, |v88|, |v89|, v151                        // 000000008000: D1D30397 065EB358
	v_max3_f32 v151, |v90|, |v91|, v151                        // 000000008008: D1D30397 065EB75A
	ds_write_b64 v220, v[150:151] offset:2304                  // 000000008010: D89A0900 000096DC
	buffer_load_dword v128, v208, s[20:23], 0 offen            // 000000008018: E0501000 800580D0
	v_sub_f32_e32 v142, v138, v140                             // 000000008020: 051D198A
	v_cmp_eq_u32_e64 s[98:99], v197, v138                      // 000000008024: D0CA0062 000315C5
	v_cndmask_b32_e64 v142, v142, 0, s[98:99]                  // 00000000802C: D100008E 0189018E
	v_mov_b32_e32 v138, v140                                   // 000000008034: 7F14038C
	v_mul_f32_e32 v142, s46, v142                              // 000000008038: 0B1D1C2E
	v_exp_f32_e32 v142, v142                                   // 00000000803C: 7F1C418E
	v_sub_f32_e32 v144, v139, v141                             // 000000008040: 05211B8B
	v_cmp_eq_u32_e64 s[98:99], v197, v139                      // 000000008044: D0CA0062 000317C5
	v_cndmask_b32_e64 v144, v144, 0, s[98:99]                  // 00000000804C: D1000090 01890190
	v_mov_b32_e32 v139, v141                                   // 000000008054: 7F16038D
	v_mul_f32_e32 v144, s46, v144                              // 000000008058: 0B21202E
	v_exp_f32_e32 v144, v144                                   // 00000000805C: 7F204190
	v_mov_b32_e32 v143, v142                                   // 000000008060: 7F1E038E
	v_mov_b32_e32 v145, v144                                   // 000000008064: 7F220390
	buffer_load_dword v130, v209, s[24:27], 0 offen            // 000000008068: E0501000 800682D1
	s_waitcnt lgkmcnt(0)                                       // 000000008070: BF8CC07F
	s_barrier                                                  // 000000008074: BF8A0000
	v_mul_f32_e32 v146, v142, v146                             // 000000008078: 0B25258E
	v_mov_b32_e32 v147, 0                                      // 00000000807C: 7F260280
	v_pk_add_f32 v[146:147], v[28:29], v[146:147]              // 000000008080: D3B24092 1803251C
	v_pk_add_f32 v[146:147], v[30:31], v[146:147]              // 000000008088: D3B24092 1803251E
	v_pk_add_f32 v[146:147], v[32:33], v[146:147]              // 000000008090: D3B24092 18032520
	v_pk_add_f32 v[146:147], v[34:35], v[146:147]              // 000000008098: D3B24092 18032522
	v_pk_add_f32 v[146:147], v[36:37], v[146:147]              // 0000000080A0: D3B24092 18032524
	v_pk_add_f32 v[146:147], v[38:39], v[146:147]              // 0000000080A8: D3B24092 18032526
	v_pk_add_f32 v[146:147], v[40:41], v[146:147]              // 0000000080B0: D3B24092 18032528
	v_pk_add_f32 v[146:147], v[42:43], v[146:147]              // 0000000080B8: D3B24092 1803252A
	v_add_f32_e32 v146, v147, v146                             // 0000000080C0: 03252593
	v_mul_f32_e32 v148, v144, v148                             // 0000000080C4: 0B292990
	v_mov_b32_e32 v149, 0                                      // 0000000080C8: 7F2A0280
	v_pk_add_f32 v[148:149], v[44:45], v[148:149]              // 0000000080CC: D3B24094 1803292C
	v_pk_add_f32 v[148:149], v[46:47], v[148:149]              // 0000000080D4: D3B24094 1803292E
	v_pk_add_f32 v[148:149], v[48:49], v[148:149]              // 0000000080DC: D3B24094 18032930
	v_pk_add_f32 v[148:149], v[50:51], v[148:149]              // 0000000080E4: D3B24094 18032932
	v_pk_add_f32 v[148:149], v[52:53], v[148:149]              // 0000000080EC: D3B24094 18032934
	v_pk_add_f32 v[148:149], v[54:55], v[148:149]              // 0000000080F4: D3B24094 18032936
	v_pk_add_f32 v[148:149], v[56:57], v[148:149]              // 0000000080FC: D3B24094 18032938
	v_pk_add_f32 v[148:149], v[58:59], v[148:149]              // 000000008104: D3B24094 1803293A
	v_add_f32_e32 v148, v149, v148                             // 00000000810C: 03292995
	ds_read_b64 v[154:155], v221 offset:2304                   // 000000008110: D8EC0900 9A0000DD
	ds_read_b64 v[156:157], v221 offset:2432                   // 000000008118: D8EC0980 9C0000DD
	ds_read_b64 v[158:159], v221 offset:2560                   // 000000008120: D8EC0A00 9E0000DD
	ds_read_b64 v[160:161], v221 offset:2688                   // 000000008128: D8EC0A80 A00000DD
	ds_read_b64 v[162:163], v221 offset:2816                   // 000000008130: D8EC0B00 A20000DD
	ds_read_b64 v[164:165], v221 offset:2944                   // 000000008138: D8EC0B80 A40000DD
	ds_read_b64 v[166:167], v221 offset:3072                   // 000000008140: D8EC0C00 A60000DD
	ds_read_b64 v[168:169], v221 offset:3200                   // 000000008148: D8EC0C80 A80000DD
	ds_read_b64 v[170:171], v221 offset:3328                   // 000000008150: D8EC0D00 AA0000DD
	ds_read_b64 v[172:173], v221 offset:3456                   // 000000008158: D8EC0D80 AC0000DD
	ds_read_b64 v[174:175], v221 offset:3584                   // 000000008160: D8EC0E00 AE0000DD
	ds_read_b64 v[176:177], v221 offset:3712                   // 000000008168: D8EC0E80 B00000DD
	ds_read_b64 v[178:179], v221 offset:3840                   // 000000008170: D8EC0F00 B20000DD
	ds_read_b64 v[180:181], v221 offset:3968                   // 000000008178: D8EC0F80 B40000DD
	ds_read_b64 v[182:183], v221 offset:4096                   // 000000008180: D8EC1000 B60000DD
	ds_read_b64 v[184:185], v221 offset:4224                   // 000000008188: D8EC1080 B80000DD
	s_waitcnt lgkmcnt(0)                                       // 000000008190: BF8CC07F
	v_max3_f32 v150, v154, v156, v150                          // 000000008194: D1D30096 065B399A
	v_max3_f32 v151, v155, v157, v151                          // 00000000819C: D1D30097 065F3B9B
	v_max3_f32 v150, v158, v160, v150                          // 0000000081A4: D1D30096 065B419E
	v_max3_f32 v151, v159, v161, v151                          // 0000000081AC: D1D30097 065F439F
	v_max3_f32 v150, v162, v164, v150                          // 0000000081B4: D1D30096 065B49A2
	v_max3_f32 v151, v163, v165, v151                          // 0000000081BC: D1D30097 065F4BA3
	v_max3_f32 v150, v166, v168, v150                          // 0000000081C4: D1D30096 065B51A6
	v_max3_f32 v151, v167, v169, v151                          // 0000000081CC: D1D30097 065F53A7
	v_max3_f32 v150, v170, v172, v150                          // 0000000081D4: D1D30096 065B59AA
	v_max3_f32 v151, v171, v173, v151                          // 0000000081DC: D1D30097 065F5BAB
	v_max3_f32 v150, v174, v176, v150                          // 0000000081E4: D1D30096 065B61AE
	v_max3_f32 v151, v175, v177, v151                          // 0000000081EC: D1D30097 065F63AF
	v_max3_f32 v150, v178, v180, v150                          // 0000000081F4: D1D30096 065B69B2
	v_max3_f32 v151, v179, v181, v151                          // 0000000081FC: D1D30097 065F6BB3
	v_max3_f32 v150, v182, v184, v150                          // 000000008204: D1D30096 065B71B6
	v_max3_f32 v151, v183, v185, v151                          // 00000000820C: D1D30097 065F73B7
	v_rcp_f32_e32 v150, v150                                   // 000000008214: 7F2C4596
	v_rcp_f32_e32 v151, v151                                   // 000000008218: 7F2E4597
	v_mul_f32_e32 v150, 0x43700000, v150                       // 00000000821C: 0B2D2CFF 43700000
	v_mul_f32_e32 v151, 0x43700000, v151                       // 000000008224: 0B2F2EFF 43700000
	v_mov_b32_e32 v152, v151                                   // 00000000822C: 7F300397
	v_mov_b32_e32 v153, v151                                   // 000000008230: 7F320397
	v_mov_b32_e32 v151, v150                                   // 000000008234: 7F2E0396
	v_pk_mul_f32 v[28:29], v[150:151], v[60:61]                // 000000008238: D3B1401C 18027996
	v_pk_mul_f32 v[30:31], v[150:151], v[62:63]                // 000000008240: D3B1401E 18027D96
	v_pk_mul_f32 v[32:33], v[150:151], v[64:65]                // 000000008248: D3B14020 18028196
	v_pk_mul_f32 v[34:35], v[150:151], v[66:67]                // 000000008250: D3B14022 18028596
	v_pk_mul_f32 v[36:37], v[150:151], v[68:69]                // 000000008258: D3B14024 18028996
	v_pk_mul_f32 v[38:39], v[150:151], v[70:71]                // 000000008260: D3B14026 18028D96
	v_pk_mul_f32 v[40:41], v[150:151], v[72:73]                // 000000008268: D3B14028 18029196
	v_pk_mul_f32 v[42:43], v[150:151], v[74:75]                // 000000008270: D3B1402A 18029596
	v_pk_mul_f32 v[44:45], v[152:153], v[76:77]                // 000000008278: D3B1402C 18029998
	v_pk_mul_f32 v[46:47], v[152:153], v[78:79]                // 000000008280: D3B1402E 18029D98
	v_pk_mul_f32 v[48:49], v[152:153], v[80:81]                // 000000008288: D3B14030 1802A198
	v_pk_mul_f32 v[50:51], v[152:153], v[82:83]                // 000000008290: D3B14032 1802A598
	v_pk_mul_f32 v[52:53], v[152:153], v[84:85]                // 000000008298: D3B14034 1802A998
	v_pk_mul_f32 v[54:55], v[152:153], v[86:87]                // 0000000082A0: D3B14036 1802AD98
	v_pk_mul_f32 v[56:57], v[152:153], v[88:89]                // 0000000082A8: D3B14038 1802B198
	v_pk_mul_f32 v[58:59], v[152:153], v[90:91]                // 0000000082B0: D3B1403A 1802B598
	v_cvt_pk_fp8_f32 v28, v28, v29                             // 0000000082B8: D2A2001C 00023B1C
	v_cvt_pk_fp8_f32 v28, v30, v31 op_sel:[0,0,1]              // 0000000082C0: D2A2401C 00023F1E
	v_cvt_pk_fp8_f32 v29, v32, v33                             // 0000000082C8: D2A2001D 00024320
	v_cvt_pk_fp8_f32 v29, v34, v35 op_sel:[0,0,1]              // 0000000082D0: D2A2401D 00024722
	v_cvt_pk_fp8_f32 v30, v36, v37                             // 0000000082D8: D2A2001E 00024B24
	v_cvt_pk_fp8_f32 v30, v38, v39 op_sel:[0,0,1]              // 0000000082E0: D2A2401E 00024F26
	v_cvt_pk_fp8_f32 v31, v40, v41                             // 0000000082E8: D2A2001F 00025328
	v_cvt_pk_fp8_f32 v31, v42, v43 op_sel:[0,0,1]              // 0000000082F0: D2A2401F 0002572A
	v_cvt_pk_fp8_f32 v32, v44, v45                             // 0000000082F8: D2A20020 00025B2C
	v_cvt_pk_fp8_f32 v32, v46, v47 op_sel:[0,0,1]              // 000000008300: D2A24020 00025F2E
	v_cvt_pk_fp8_f32 v33, v48, v49                             // 000000008308: D2A20021 00026330
	v_cvt_pk_fp8_f32 v33, v50, v51 op_sel:[0,0,1]              // 000000008310: D2A24021 00026732
	v_cvt_pk_fp8_f32 v34, v52, v53                             // 000000008318: D2A20022 00026B34
	v_cvt_pk_fp8_f32 v34, v54, v55 op_sel:[0,0,1]              // 000000008320: D2A24022 00026F36
	v_cvt_pk_fp8_f32 v35, v56, v57                             // 000000008328: D2A20023 00027338
	v_cvt_pk_fp8_f32 v35, v58, v59 op_sel:[0,0,1]              // 000000008330: D2A24023 0002773A
	ds_write_b32 v222, v28 offset:4608                         // 000000008338: D81A1200 00001CDE
	ds_write_b32 v222, v29 offset:5632                         // 000000008340: D81A1600 00001DDE
	ds_write_b32 v222, v30 offset:6656                         // 000000008348: D81A1A00 00001EDE
	ds_write_b32 v222, v31 offset:7680                         // 000000008350: D81A1E00 00001FDE
	ds_write_b32 v222, v32 offset:8704                         // 000000008358: D81A2200 000020DE
	ds_write_b32 v222, v33 offset:9728                         // 000000008360: D81A2600 000021DE
	ds_write_b32 v222, v34 offset:10752                        // 000000008368: D81A2A00 000022DE
	ds_write_b32 v222, v35 offset:11776                        // 000000008370: D81A2E00 000023DE
	v_rcp_f32_e32 v132, v150                                   // 000000008378: 7F084596
	v_rcp_f32_e32 v134, v152                                   // 00000000837C: 7F0C4598
	v_mov_b32_e32 v133, v132                                   // 000000008380: 7F0A0384
	v_mov_b32_e32 v135, v134                                   // 000000008384: 7F0E0386
	v_pk_add_f32 v[108:109], v[108:109], v[92:93]              // 000000008388: D3B2406C 1802B96C
	v_pk_add_f32 v[110:111], v[110:111], v[94:95]              // 000000008390: D3B2406E 1802BD6E
	v_pk_add_f32 v[112:113], v[112:113], v[96:97]              // 000000008398: D3B24070 1802C170
	v_pk_add_f32 v[114:115], v[114:115], v[98:99]              // 0000000083A0: D3B24072 1802C572
	v_pk_add_f32 v[116:117], v[116:117], v[100:101]            // 0000000083A8: D3B24074 1802C974
	v_pk_add_f32 v[118:119], v[118:119], v[102:103]            // 0000000083B0: D3B24076 1802CD76
	v_pk_add_f32 v[120:121], v[120:121], v[104:105]            // 0000000083B8: D3B24078 1802D178
	v_pk_add_f32 v[122:123], v[122:123], v[106:107]            // 0000000083C0: D3B2407A 1802D57A
	s_waitcnt lgkmcnt(0)                                       // 0000000083C8: BF8CC07F
	s_barrier                                                  // 0000000083CC: BF8A0000
	ds_read_b128 v[28:31], v223 offset:4608                    // 0000000083D0: D9FE1200 1C0000DF
	ds_read_b128 v[32:35], v223 offset:5632                    // 0000000083D8: D9FE1600 200000DF
	ds_read_b128 v[36:39], v223 offset:6656                    // 0000000083E0: D9FE1A00 240000DF
	ds_read_b128 v[40:43], v223 offset:7680                    // 0000000083E8: D9FE1E00 280000DF
	ds_read_b128 v[44:47], v223 offset:8704                    // 0000000083F0: D9FE2200 2C0000DF
	ds_read_b128 v[48:51], v223 offset:9728                    // 0000000083F8: D9FE2600 300000DF
	ds_read_b128 v[52:55], v223 offset:10752                   // 000000008400: D9FE2A00 340000DF
	ds_read_b128 v[56:59], v223 offset:11776                   // 000000008408: D9FE2E00 380000DF
	s_waitcnt vmcnt(10)                                        // 000000008410: BF8C0F7A
	s_waitcnt lgkmcnt(7)                                       // 000000008414: BF8CC77F
	v_mfma_f32_16x16x32_fp8_fp8 v[92:95], a[96:97], v[28:29], 0// 000000008418: D3F3005C 0A023960
	v_mfma_f32_16x16x32_fp8_fp8 v[96:99], a[112:113], v[28:29], 0// 000000008420: D3F30060 0A023970
	v_mfma_f32_16x16x32_fp8_fp8 v[92:95], a[98:99], v[30:31], v[92:95]// 000000008428: D3F3005C 0D723D62
	buffer_load_dwordx4 a[64:67], v204, s[16:19], 0 offen      // 000000008430: E05C1000 808440CC
	v_mfma_f32_16x16x32_fp8_fp8 v[96:99], a[114:115], v[30:31], v[96:99]// 000000008438: D3F30060 0D823D72
	s_waitcnt lgkmcnt(6)                                       // 000000008440: BF8CC67F
	v_mfma_f32_16x16x32_fp8_fp8 v[92:95], a[100:101], v[32:33], v[92:95]// 000000008444: D3F3005C 0D724164
	v_mfma_f32_16x16x32_fp8_fp8 v[96:99], a[116:117], v[32:33], v[96:99]// 00000000844C: D3F30060 0D824174
	v_mfma_f32_16x16x32_fp8_fp8 v[92:95], a[102:103], v[34:35], v[92:95]// 000000008454: D3F3005C 0D724566
	buffer_load_dwordx4 a[68:71], v205, s[16:19], 0 offen      // 00000000845C: E05C1000 808444CD
	v_mfma_f32_16x16x32_fp8_fp8 v[96:99], a[118:119], v[34:35], v[96:99]// 000000008464: D3F30060 0D824576
	s_waitcnt lgkmcnt(5)                                       // 00000000846C: BF8CC57F
	v_mfma_f32_16x16x32_fp8_fp8 v[92:95], a[104:105], v[36:37], v[92:95]// 000000008470: D3F3005C 0D724968
	v_mfma_f32_16x16x32_fp8_fp8 v[96:99], a[120:121], v[36:37], v[96:99]// 000000008478: D3F30060 0D824978
	v_mfma_f32_16x16x32_fp8_fp8 v[92:95], a[106:107], v[38:39], v[92:95]// 000000008480: D3F3005C 0D724D6A
	buffer_load_dwordx4 a[72:75], v206, s[16:19], 0 offen      // 000000008488: E05C1000 808448CE
	v_mfma_f32_16x16x32_fp8_fp8 v[96:99], a[122:123], v[38:39], v[96:99]// 000000008490: D3F30060 0D824D7A
	s_waitcnt lgkmcnt(4)                                       // 000000008498: BF8CC47F
	v_mfma_f32_16x16x32_fp8_fp8 v[92:95], a[108:109], v[40:41], v[92:95]// 00000000849C: D3F3005C 0D72516C
	v_mfma_f32_16x16x32_fp8_fp8 v[96:99], a[124:125], v[40:41], v[96:99]// 0000000084A4: D3F30060 0D82517C
	v_mfma_f32_16x16x32_fp8_fp8 v[92:95], a[110:111], v[42:43], v[92:95]// 0000000084AC: D3F3005C 0D72556E
	buffer_load_dwordx4 a[76:79], v207, s[16:19], 0 offen      // 0000000084B4: E05C1000 80844CCF
	v_mfma_f32_16x16x32_fp8_fp8 v[96:99], a[126:127], v[42:43], v[96:99]// 0000000084BC: D3F30060 0D82557E
	s_waitcnt lgkmcnt(3)                                       // 0000000084C4: BF8CC37F
	v_mfma_f32_16x16x32_fp8_fp8 v[100:103], a[96:97], v[44:45], 0// 0000000084C8: D3F30064 0A025960
	v_mfma_f32_16x16x32_fp8_fp8 v[104:107], a[112:113], v[44:45], 0// 0000000084D0: D3F30068 0A025970
	v_mfma_f32_16x16x32_fp8_fp8 v[100:103], a[98:99], v[46:47], v[100:103]// 0000000084D8: D3F30064 0D925D62
	buffer_load_dwordx4 a[80:83], v204, s[16:19], 0 offen offset:1024// 0000000084E0: E05C1400 808450CC
	v_mfma_f32_16x16x32_fp8_fp8 v[104:107], a[114:115], v[46:47], v[104:107]// 0000000084E8: D3F30068 0DA25D72
	s_waitcnt lgkmcnt(2)                                       // 0000000084F0: BF8CC27F
	v_mfma_f32_16x16x32_fp8_fp8 v[100:103], a[100:101], v[48:49], v[100:103]// 0000000084F4: D3F30064 0D926164
	v_mfma_f32_16x16x32_fp8_fp8 v[104:107], a[116:117], v[48:49], v[104:107]// 0000000084FC: D3F30068 0DA26174
	v_mfma_f32_16x16x32_fp8_fp8 v[100:103], a[102:103], v[50:51], v[100:103]// 000000008504: D3F30064 0D926566
	buffer_load_dwordx4 a[84:87], v205, s[16:19], 0 offen offset:1024// 00000000850C: E05C1400 808454CD
	v_mfma_f32_16x16x32_fp8_fp8 v[104:107], a[118:119], v[50:51], v[104:107]// 000000008514: D3F30068 0DA26576
	s_waitcnt lgkmcnt(1)                                       // 00000000851C: BF8CC17F
	v_mfma_f32_16x16x32_fp8_fp8 v[100:103], a[104:105], v[52:53], v[100:103]// 000000008520: D3F30064 0D926968
	v_mfma_f32_16x16x32_fp8_fp8 v[104:107], a[120:121], v[52:53], v[104:107]// 000000008528: D3F30068 0DA26978
	v_mfma_f32_16x16x32_fp8_fp8 v[100:103], a[106:107], v[54:55], v[100:103]// 000000008530: D3F30064 0D926D6A
	buffer_load_dwordx4 a[88:91], v206, s[16:19], 0 offen offset:1024// 000000008538: E05C1400 808458CE
	v_mfma_f32_16x16x32_fp8_fp8 v[104:107], a[122:123], v[54:55], v[104:107]// 000000008540: D3F30068 0DA26D7A
	s_waitcnt lgkmcnt(0)                                       // 000000008548: BF8CC07F
	v_mfma_f32_16x16x32_fp8_fp8 v[100:103], a[108:109], v[56:57], v[100:103]// 00000000854C: D3F30064 0D92716C
	v_mfma_f32_16x16x32_fp8_fp8 v[104:107], a[124:125], v[56:57], v[104:107]// 000000008554: D3F30068 0DA2717C
	v_mfma_f32_16x16x32_fp8_fp8 v[100:103], a[110:111], v[58:59], v[100:103]// 00000000855C: D3F30064 0D92756E
	buffer_load_dwordx4 a[92:95], v207, s[16:19], 0 offen offset:1024// 000000008564: E05C1400 80845CCF
	v_mfma_f32_16x16x32_fp8_fp8 v[104:107], a[126:127], v[58:59], v[104:107]// 00000000856C: D3F30068 0DA2757E
	s_addk_i32 s64, 0x100                                      // 000000008574: B7400100
	s_cmp_lt_i32 s64, s63                                      // 000000008578: BF043F40
	s_cbranch_scc0 label_29CA                                  // 00000000857C: BF84126A
	s_waitcnt vmcnt(10)                                        // 000000008580: BF8C0F7A
	v_mfma_f32_16x16x32_fp8_fp8 v[28:31], a[0:1], v[12:13], 0  // 000000008584: D3F3001C 0A021900
	s_add_u32 s12, s86, s69                                    // 00000000858C: 800C4556
	s_addc_u32 s13, s87, 0                                     // 000000008590: 820D8057
	v_mfma_f32_16x16x32_fp8_fp8 v[28:31], a[2:3], v[14:15], v[28:31]// 000000008594: D3F3001C 0C721D02
	s_add_u32 s16, s88, s70                                    // 00000000859C: 80104658
	s_addc_u32 s17, s89, 0                                     // 0000000085A0: 82118059
	v_mfma_f32_16x16x32_fp8_fp8 v[28:31], a[4:5], v[16:17], v[28:31]// 0000000085A4: D3F3001C 0C722104
	buffer_load_dwordx4 a[32:35], v202, s[12:15], 0 offen      // 0000000085AC: E05C1000 808320CA
	v_mfma_f32_16x16x32_fp8_fp8 v[28:31], a[6:7], v[18:19], v[28:31]// 0000000085B4: D3F3001C 0C722506
	s_add_u32 s20, s90, s71                                    // 0000000085BC: 8014475A
	s_addc_u32 s21, s91, 0                                     // 0000000085C0: 8215805B
	v_mfma_f32_16x16x32_fp8_fp8 v[32:35], a[8:9], v[12:13], 0  // 0000000085C4: D3F30020 0A021908
	s_add_u32 s24, s92, s71                                    // 0000000085CC: 8018475C
	s_addc_u32 s25, s93, 0                                     // 0000000085D0: 8219805D
	v_mfma_f32_16x16x32_fp8_fp8 v[32:35], a[10:11], v[14:15], v[32:35]// 0000000085D4: D3F30020 0C821D0A
	s_mul_i32 s69, s59, s50                                    // 0000000085DC: 9245323B
	s_mul_i32 s71, s59, s66                                    // 0000000085E0: 9247423B
	v_mfma_f32_16x16x32_fp8_fp8 v[32:35], a[12:13], v[16:17], v[32:35]// 0000000085E4: D3F30020 0C82210C
	buffer_load_dwordx4 a[36:39], v203, s[12:15], 0 offen      // 0000000085EC: E05C1000 808324CB
	v_mfma_f32_16x16x32_fp8_fp8 v[32:35], a[14:15], v[18:19], v[32:35]// 0000000085F4: D3F30020 0C82250E
	s_mul_i32 s54, s78, s51                                    // 0000000085FC: 9236334E
	s_add_u32 s69, s69, s54                                    // 000000008600: 80453645
	v_mfma_f32_16x16x32_fp8_fp8 v[36:39], a[16:17], v[12:13], 0// 000000008604: D3F30024 0A021910
	s_mov_b32 s70, s69                                         // 00000000860C: BEC60045
	v_mfma_f32_16x16x32_fp8_fp8 v[36:39], a[18:19], v[14:15], v[36:39]// 000000008610: D3F30024 0C921D12
	s_mul_i32 s54, s78, s100                                   // 000000008618: 9236644E
	s_add_u32 s71, s71, s54                                    // 00000000861C: 80473647
	v_mfma_f32_16x16x32_fp8_fp8 v[36:39], a[20:21], v[16:17], v[36:39]// 000000008620: D3F30024 0C922114
	buffer_load_dwordx4 a[40:43], v202, s[12:15], 0 offen offset:1024// 000000008628: E05C1400 808328CA
	v_mfma_f32_16x16x32_fp8_fp8 v[36:39], a[22:23], v[18:19], v[36:39]// 000000008630: D3F30024 0C922516
	v_mfma_f32_16x16x32_fp8_fp8 v[40:43], a[24:25], v[12:13], 0// 000000008638: D3F30028 0A021918
	v_mfma_f32_16x16x32_fp8_fp8 v[40:43], a[26:27], v[14:15], v[40:43]// 000000008640: D3F30028 0CA21D1A
	v_mfma_f32_16x16x32_fp8_fp8 v[40:43], a[28:29], v[16:17], v[40:43]// 000000008648: D3F30028 0CA2211C
	buffer_load_dwordx4 a[44:47], v203, s[12:15], 0 offen offset:1024// 000000008650: E05C1400 80832CCB
	v_mfma_f32_16x16x32_fp8_fp8 v[40:43], a[30:31], v[18:19], v[40:43]// 000000008658: D3F30028 0CA2251E
	v_mfma_f32_16x16x32_fp8_fp8 v[44:47], a[0:1], v[20:21], 0  // 000000008660: D3F3002C 0A022900
	v_mfma_f32_16x16x32_fp8_fp8 v[44:47], a[2:3], v[22:23], v[44:47]// 000000008668: D3F3002C 0CB22D02
	v_mfma_f32_16x16x32_fp8_fp8 v[44:47], a[4:5], v[24:25], v[44:47]// 000000008670: D3F3002C 0CB23104
	buffer_load_dwordx4 a[48:51], v202, s[12:15], 0 offen offset:2048// 000000008678: E05C1800 808330CA
	v_mfma_f32_16x16x32_fp8_fp8 v[44:47], a[6:7], v[26:27], v[44:47]// 000000008680: D3F3002C 0CB23506
	v_mfma_f32_16x16x32_fp8_fp8 v[48:51], a[8:9], v[20:21], 0  // 000000008688: D3F30030 0A022908
	v_mfma_f32_16x16x32_fp8_fp8 v[48:51], a[10:11], v[22:23], v[48:51]// 000000008690: D3F30030 0CC22D0A
	v_mfma_f32_16x16x32_fp8_fp8 v[48:51], a[12:13], v[24:25], v[48:51]// 000000008698: D3F30030 0CC2310C
	buffer_load_dwordx4 a[52:55], v203, s[12:15], 0 offen offset:2048// 0000000086A0: E05C1800 808334CB
	v_mfma_f32_16x16x32_fp8_fp8 v[48:51], a[14:15], v[26:27], v[48:51]// 0000000086A8: D3F30030 0CC2350E
	v_mfma_f32_16x16x32_fp8_fp8 v[52:55], a[16:17], v[20:21], 0// 0000000086B0: D3F30034 0A022910
	v_mfma_f32_16x16x32_fp8_fp8 v[52:55], a[18:19], v[22:23], v[52:55]// 0000000086B8: D3F30034 0CD22D12
	v_mfma_f32_16x16x32_fp8_fp8 v[52:55], a[20:21], v[24:25], v[52:55]// 0000000086C0: D3F30034 0CD23114
	buffer_load_dwordx4 a[56:59], v202, s[12:15], 0 offen offset:3072// 0000000086C8: E05C1C00 808338CA
	v_mfma_f32_16x16x32_fp8_fp8 v[52:55], a[22:23], v[26:27], v[52:55]// 0000000086D0: D3F30034 0CD23516
	v_mfma_f32_16x16x32_fp8_fp8 v[56:59], a[24:25], v[20:21], 0// 0000000086D8: D3F30038 0A022918
	v_mfma_f32_16x16x32_fp8_fp8 v[56:59], a[26:27], v[22:23], v[56:59]// 0000000086E0: D3F30038 0CE22D1A
	v_mfma_f32_16x16x32_fp8_fp8 v[56:59], a[28:29], v[24:25], v[56:59]// 0000000086E8: D3F30038 0CE2311C
	buffer_load_dwordx4 a[60:63], v203, s[12:15], 0 offen offset:3072// 0000000086F0: E05C1C00 80833CCB
	v_mfma_f32_16x16x32_fp8_fp8 v[56:59], a[30:31], v[26:27], v[56:59]// 0000000086F8: D3F30038 0CE2351E
	s_waitcnt vmcnt(16)                                        // 000000008700: BF8C4F70
	v_pk_mul_f32 v[28:29], v[124:125], v[28:29]                // 000000008704: D3B1401C 1802397C
	v_pk_mul_f32 v[30:31], v[124:125], v[30:31]                // 00000000870C: D3B1401E 18023D7C
	v_mul_f32_dpp v28, v128, v28 row_newbcast:0 row_mask:0xf bank_mask:0xf// 000000008714: 0A3838FA FF015080
	v_mul_f32_dpp v29, v128, v29 row_newbcast:1 row_mask:0xf bank_mask:0xf// 00000000871C: 0A3A3AFA FF015180
	v_mul_f32_dpp v30, v128, v30 row_newbcast:2 row_mask:0xf bank_mask:0xf// 000000008724: 0A3C3CFA FF015280
	v_mul_f32_dpp v31, v128, v31 row_newbcast:3 row_mask:0xf bank_mask:0xf// 00000000872C: 0A3E3EFA FF015380
	v_pk_mul_f32 v[32:33], v[124:125], v[32:33]                // 000000008734: D3B14020 1802417C
	v_pk_mul_f32 v[34:35], v[124:125], v[34:35]                // 00000000873C: D3B14022 1802457C
	v_mul_f32_dpp v32, v128, v32 row_newbcast:4 row_mask:0xf bank_mask:0xf// 000000008744: 0A4040FA FF015480
	v_mul_f32_dpp v33, v128, v33 row_newbcast:5 row_mask:0xf bank_mask:0xf// 00000000874C: 0A4242FA FF015580
	v_mul_f32_dpp v34, v128, v34 row_newbcast:6 row_mask:0xf bank_mask:0xf// 000000008754: 0A4444FA FF015680
	v_mul_f32_dpp v35, v128, v35 row_newbcast:7 row_mask:0xf bank_mask:0xf// 00000000875C: 0A4646FA FF015780
	v_pk_mul_f32 v[36:37], v[124:125], v[36:37]                // 000000008764: D3B14024 1802497C
	v_pk_mul_f32 v[38:39], v[124:125], v[38:39]                // 00000000876C: D3B14026 18024D7C
	v_mul_f32_dpp v36, v128, v36 row_newbcast:8 row_mask:0xf bank_mask:0xf// 000000008774: 0A4848FA FF015880
	v_mul_f32_dpp v37, v128, v37 row_newbcast:9 row_mask:0xf bank_mask:0xf// 00000000877C: 0A4A4AFA FF015980
	v_mul_f32_dpp v38, v128, v38 row_newbcast:10 row_mask:0xf bank_mask:0xf// 000000008784: 0A4C4CFA FF015A80
	v_mul_f32_dpp v39, v128, v39 row_newbcast:11 row_mask:0xf bank_mask:0xf// 00000000878C: 0A4E4EFA FF015B80
	v_pk_mul_f32 v[40:41], v[124:125], v[40:41]                // 000000008794: D3B14028 1802517C
	v_pk_mul_f32 v[42:43], v[124:125], v[42:43]                // 00000000879C: D3B1402A 1802557C
	v_mul_f32_dpp v40, v128, v40 row_newbcast:12 row_mask:0xf bank_mask:0xf// 0000000087A4: 0A5050FA FF015C80
	v_mul_f32_dpp v41, v128, v41 row_newbcast:13 row_mask:0xf bank_mask:0xf// 0000000087AC: 0A5252FA FF015D80
	v_mul_f32_dpp v42, v128, v42 row_newbcast:14 row_mask:0xf bank_mask:0xf// 0000000087B4: 0A5454FA FF015E80
	v_mul_f32_dpp v43, v128, v43 row_newbcast:15 row_mask:0xf bank_mask:0xf// 0000000087BC: 0A5656FA FF015F80
	v_pk_mul_f32 v[44:45], v[126:127], v[44:45]                // 0000000087C4: D3B1402C 1802597E
	v_pk_mul_f32 v[46:47], v[126:127], v[46:47]                // 0000000087CC: D3B1402E 18025D7E
	v_mul_f32_dpp v44, v128, v44 row_newbcast:0 row_mask:0xf bank_mask:0xf// 0000000087D4: 0A5858FA FF015080
	v_mul_f32_dpp v45, v128, v45 row_newbcast:1 row_mask:0xf bank_mask:0xf// 0000000087DC: 0A5A5AFA FF015180
	v_mul_f32_dpp v46, v128, v46 row_newbcast:2 row_mask:0xf bank_mask:0xf// 0000000087E4: 0A5C5CFA FF015280
	v_mul_f32_dpp v47, v128, v47 row_newbcast:3 row_mask:0xf bank_mask:0xf// 0000000087EC: 0A5E5EFA FF015380
	v_pk_mul_f32 v[48:49], v[126:127], v[48:49]                // 0000000087F4: D3B14030 1802617E
	v_pk_mul_f32 v[50:51], v[126:127], v[50:51]                // 0000000087FC: D3B14032 1802657E
	v_mul_f32_dpp v48, v128, v48 row_newbcast:4 row_mask:0xf bank_mask:0xf// 000000008804: 0A6060FA FF015480
	v_mul_f32_dpp v49, v128, v49 row_newbcast:5 row_mask:0xf bank_mask:0xf// 00000000880C: 0A6262FA FF015580
	v_mul_f32_dpp v50, v128, v50 row_newbcast:6 row_mask:0xf bank_mask:0xf// 000000008814: 0A6464FA FF015680
	v_mul_f32_dpp v51, v128, v51 row_newbcast:7 row_mask:0xf bank_mask:0xf// 00000000881C: 0A6666FA FF015780
	v_pk_mul_f32 v[52:53], v[126:127], v[52:53]                // 000000008824: D3B14034 1802697E
	v_pk_mul_f32 v[54:55], v[126:127], v[54:55]                // 00000000882C: D3B14036 18026D7E
	v_mul_f32_dpp v52, v128, v52 row_newbcast:8 row_mask:0xf bank_mask:0xf// 000000008834: 0A6868FA FF015880
	v_mul_f32_dpp v53, v128, v53 row_newbcast:9 row_mask:0xf bank_mask:0xf// 00000000883C: 0A6A6AFA FF015980
	v_mul_f32_dpp v54, v128, v54 row_newbcast:10 row_mask:0xf bank_mask:0xf// 000000008844: 0A6C6CFA FF015A80
	v_mul_f32_dpp v55, v128, v55 row_newbcast:11 row_mask:0xf bank_mask:0xf// 00000000884C: 0A6E6EFA FF015B80
	v_pk_mul_f32 v[56:57], v[126:127], v[56:57]                // 000000008854: D3B14038 1802717E
	v_pk_mul_f32 v[58:59], v[126:127], v[58:59]                // 00000000885C: D3B1403A 1802757E
	v_mul_f32_dpp v56, v128, v56 row_newbcast:12 row_mask:0xf bank_mask:0xf// 000000008864: 0A7070FA FF015C80
	v_mul_f32_dpp v57, v128, v57 row_newbcast:13 row_mask:0xf bank_mask:0xf// 00000000886C: 0A7272FA FF015D80
	v_mul_f32_dpp v58, v128, v58 row_newbcast:14 row_mask:0xf bank_mask:0xf// 000000008874: 0A7474FA FF015E80
	v_mul_f32_dpp v59, v128, v59 row_newbcast:15 row_mask:0xf bank_mask:0xf// 00000000887C: 0A7676FA FF015F80
	v_mov_b32_e32 v150, v28                                    // 000000008884: 7F2C031C
	v_max3_f32 v150, v28, v29, v150                            // 000000008888: D1D30096 065A3B1C
	v_max3_f32 v150, v30, v31, v150                            // 000000008890: D1D30096 065A3F1E
	v_max3_f32 v150, v32, v33, v150                            // 000000008898: D1D30096 065A4320
	v_max3_f32 v150, v34, v35, v150                            // 0000000088A0: D1D30096 065A4722
	v_max3_f32 v150, v36, v37, v150                            // 0000000088A8: D1D30096 065A4B24
	v_max3_f32 v150, v38, v39, v150                            // 0000000088B0: D1D30096 065A4F26
	v_max3_f32 v150, v40, v41, v150                            // 0000000088B8: D1D30096 065A5328
	v_max3_f32 v150, v42, v43, v150                            // 0000000088C0: D1D30096 065A572A
	v_mov_b32_e32 v151, v44                                    // 0000000088C8: 7F2E032C
	v_max3_f32 v151, v44, v45, v151                            // 0000000088CC: D1D30097 065E5B2C
	v_max3_f32 v151, v46, v47, v151                            // 0000000088D4: D1D30097 065E5F2E
	v_max3_f32 v151, v48, v49, v151                            // 0000000088DC: D1D30097 065E6330
	v_max3_f32 v151, v50, v51, v151                            // 0000000088E4: D1D30097 065E6732
	v_max3_f32 v151, v52, v53, v151                            // 0000000088EC: D1D30097 065E6B34
	v_max3_f32 v151, v54, v55, v151                            // 0000000088F4: D1D30097 065E6F36
	v_max3_f32 v151, v56, v57, v151                            // 0000000088FC: D1D30097 065E7338
	v_max3_f32 v151, v58, v59, v151                            // 000000008904: D1D30097 065E773A
	ds_write_b64 v220, v[150:151]                              // 00000000890C: D89A0000 000096DC
	v_pk_mul_f32 v[108:109], v[142:143], v[108:109]            // 000000008914: D3B1406C 1802D98E
	v_pk_mul_f32 v[110:111], v[142:143], v[110:111]            // 00000000891C: D3B1406E 1802DD8E
	v_pk_mul_f32 v[112:113], v[142:143], v[112:113]            // 000000008924: D3B14070 1802E18E
	v_pk_mul_f32 v[114:115], v[142:143], v[114:115]            // 00000000892C: D3B14072 1802E58E
	v_pk_mul_f32 v[116:117], v[144:145], v[116:117]            // 000000008934: D3B14074 1802E990
	v_pk_mul_f32 v[118:119], v[144:145], v[118:119]            // 00000000893C: D3B14076 1802ED90
	v_pk_mul_f32 v[120:121], v[144:145], v[120:121]            // 000000008944: D3B14078 1802F190
	v_pk_mul_f32 v[122:123], v[144:145], v[122:123]            // 00000000894C: D3B1407A 1802F590
	s_waitcnt lgkmcnt(0)                                       // 000000008954: BF8CC07F
	s_barrier                                                  // 000000008958: BF8A0000
	v_pk_mul_f32 v[92:93], v[132:133], v[92:93]                // 00000000895C: D3B1405C 1802B984
	v_pk_mul_f32 v[94:95], v[132:133], v[94:95]                // 000000008964: D3B1405E 1802BD84
	v_pk_mul_f32 v[96:97], v[132:133], v[96:97]                // 00000000896C: D3B14060 1802C184
	v_pk_mul_f32 v[98:99], v[132:133], v[98:99]                // 000000008974: D3B14062 1802C584
	v_pk_mul_f32 v[100:101], v[134:135], v[100:101]            // 00000000897C: D3B14064 1802C986
	v_pk_mul_f32 v[102:103], v[134:135], v[102:103]            // 000000008984: D3B14066 1802CD86
	v_pk_mul_f32 v[104:105], v[134:135], v[104:105]            // 00000000898C: D3B14068 1802D186
	v_pk_mul_f32 v[106:107], v[134:135], v[106:107]            // 000000008994: D3B1406A 1802D586
	ds_read_b64 v[154:155], v221                               // 00000000899C: D8EC0000 9A0000DD
	ds_read_b64 v[156:157], v221 offset:128                    // 0000000089A4: D8EC0080 9C0000DD
	ds_read_b64 v[158:159], v221 offset:256                    // 0000000089AC: D8EC0100 9E0000DD
	ds_read_b64 v[160:161], v221 offset:384                    // 0000000089B4: D8EC0180 A00000DD
	ds_read_b64 v[162:163], v221 offset:512                    // 0000000089BC: D8EC0200 A20000DD
	ds_read_b64 v[164:165], v221 offset:640                    // 0000000089C4: D8EC0280 A40000DD
	ds_read_b64 v[166:167], v221 offset:768                    // 0000000089CC: D8EC0300 A60000DD
	ds_read_b64 v[168:169], v221 offset:896                    // 0000000089D4: D8EC0380 A80000DD
	ds_read_b64 v[170:171], v221 offset:1024                   // 0000000089DC: D8EC0400 AA0000DD
	ds_read_b64 v[172:173], v221 offset:1152                   // 0000000089E4: D8EC0480 AC0000DD
	ds_read_b64 v[174:175], v221 offset:1280                   // 0000000089EC: D8EC0500 AE0000DD
	ds_read_b64 v[176:177], v221 offset:1408                   // 0000000089F4: D8EC0580 B00000DD
	ds_read_b64 v[178:179], v221 offset:1536                   // 0000000089FC: D8EC0600 B20000DD
	ds_read_b64 v[180:181], v221 offset:1664                   // 000000008A04: D8EC0680 B40000DD
	ds_read_b64 v[182:183], v221 offset:1792                   // 000000008A0C: D8EC0700 B60000DD
	ds_read_b64 v[184:185], v221 offset:1920                   // 000000008A14: D8EC0780 B80000DD
	s_waitcnt lgkmcnt(0)                                       // 000000008A1C: BF8CC07F
	v_max3_f32 v150, v154, v156, v150                          // 000000008A20: D1D30096 065B399A
	v_max3_f32 v151, v155, v157, v151                          // 000000008A28: D1D30097 065F3B9B
	v_max3_f32 v150, v158, v160, v150                          // 000000008A30: D1D30096 065B419E
	v_max3_f32 v151, v159, v161, v151                          // 000000008A38: D1D30097 065F439F
	v_max3_f32 v150, v162, v164, v150                          // 000000008A40: D1D30096 065B49A2
	v_max3_f32 v151, v163, v165, v151                          // 000000008A48: D1D30097 065F4BA3
	v_max3_f32 v150, v166, v168, v150                          // 000000008A50: D1D30096 065B51A6
	v_max3_f32 v151, v167, v169, v151                          // 000000008A58: D1D30097 065F53A7
	v_max3_f32 v150, v170, v172, v150                          // 000000008A60: D1D30096 065B59AA
	v_max3_f32 v151, v171, v173, v151                          // 000000008A68: D1D30097 065F5BAB
	v_max3_f32 v150, v174, v176, v150                          // 000000008A70: D1D30096 065B61AE
	v_max3_f32 v151, v175, v177, v151                          // 000000008A78: D1D30097 065F63AF
	v_max3_f32 v150, v178, v180, v150                          // 000000008A80: D1D30096 065B69B2
	v_max3_f32 v151, v179, v181, v151                          // 000000008A88: D1D30097 065F6BB3
	v_max3_f32 v150, v182, v184, v150                          // 000000008A90: D1D30096 065B71B6
	v_max3_f32 v151, v183, v185, v151                          // 000000008A98: D1D30097 065F73B7
	v_max_f32_e32 v140, v150, v138                             // 000000008AA0: 17191596
	v_mul_f32_e64 v186, -s46, v140                             // 000000008AA4: D10500BA 2003182E
	v_mov_b32_e32 v187, v186                                   // 000000008AAC: 7F7603BA
	v_pk_fma_f32 v[28:29], v[28:29], s[46:47], v[186:187]      // 000000008AB0: D3B0401C 1EE85D1C
	v_pk_fma_f32 v[30:31], v[30:31], s[46:47], v[186:187]      // 000000008AB8: D3B0401E 1EE85D1E
	v_exp_f32_e32 v28, v28                                     // 000000008AC0: 7E38411C
	v_exp_f32_e32 v29, v29                                     // 000000008AC4: 7E3A411D
	v_exp_f32_e32 v30, v30                                     // 000000008AC8: 7E3C411E
	v_exp_f32_e32 v31, v31                                     // 000000008ACC: 7E3E411F
	v_pk_fma_f32 v[32:33], v[32:33], s[46:47], v[186:187]      // 000000008AD0: D3B04020 1EE85D20
	v_pk_fma_f32 v[34:35], v[34:35], s[46:47], v[186:187]      // 000000008AD8: D3B04022 1EE85D22
	v_exp_f32_e32 v32, v32                                     // 000000008AE0: 7E404120
	v_exp_f32_e32 v33, v33                                     // 000000008AE4: 7E424121
	v_exp_f32_e32 v34, v34                                     // 000000008AE8: 7E444122
	v_exp_f32_e32 v35, v35                                     // 000000008AEC: 7E464123
	v_pk_fma_f32 v[36:37], v[36:37], s[46:47], v[186:187]      // 000000008AF0: D3B04024 1EE85D24
	v_pk_fma_f32 v[38:39], v[38:39], s[46:47], v[186:187]      // 000000008AF8: D3B04026 1EE85D26
	v_exp_f32_e32 v36, v36                                     // 000000008B00: 7E484124
	v_exp_f32_e32 v37, v37                                     // 000000008B04: 7E4A4125
	v_exp_f32_e32 v38, v38                                     // 000000008B08: 7E4C4126
	v_exp_f32_e32 v39, v39                                     // 000000008B0C: 7E4E4127
	v_pk_fma_f32 v[40:41], v[40:41], s[46:47], v[186:187]      // 000000008B10: D3B04028 1EE85D28
	v_pk_fma_f32 v[42:43], v[42:43], s[46:47], v[186:187]      // 000000008B18: D3B0402A 1EE85D2A
	v_exp_f32_e32 v40, v40                                     // 000000008B20: 7E504128
	v_exp_f32_e32 v41, v41                                     // 000000008B24: 7E524129
	v_exp_f32_e32 v42, v42                                     // 000000008B28: 7E54412A
	v_exp_f32_e32 v43, v43                                     // 000000008B2C: 7E56412B
	v_max_f32_e32 v141, v151, v139                             // 000000008B30: 171B1797
	v_mul_f32_e64 v186, -s46, v141                             // 000000008B34: D10500BA 20031A2E
	v_mov_b32_e32 v187, v186                                   // 000000008B3C: 7F7603BA
	v_pk_fma_f32 v[44:45], v[44:45], s[46:47], v[186:187]      // 000000008B40: D3B0402C 1EE85D2C
	v_pk_fma_f32 v[46:47], v[46:47], s[46:47], v[186:187]      // 000000008B48: D3B0402E 1EE85D2E
	v_exp_f32_e32 v44, v44                                     // 000000008B50: 7E58412C
	v_exp_f32_e32 v45, v45                                     // 000000008B54: 7E5A412D
	v_exp_f32_e32 v46, v46                                     // 000000008B58: 7E5C412E
	v_exp_f32_e32 v47, v47                                     // 000000008B5C: 7E5E412F
	v_pk_fma_f32 v[48:49], v[48:49], s[46:47], v[186:187]      // 000000008B60: D3B04030 1EE85D30
	v_pk_fma_f32 v[50:51], v[50:51], s[46:47], v[186:187]      // 000000008B68: D3B04032 1EE85D32
	v_exp_f32_e32 v48, v48                                     // 000000008B70: 7E604130
	v_exp_f32_e32 v49, v49                                     // 000000008B74: 7E624131
	v_exp_f32_e32 v50, v50                                     // 000000008B78: 7E644132
	v_exp_f32_e32 v51, v51                                     // 000000008B7C: 7E664133
	v_pk_fma_f32 v[52:53], v[52:53], s[46:47], v[186:187]      // 000000008B80: D3B04034 1EE85D34
	v_pk_fma_f32 v[54:55], v[54:55], s[46:47], v[186:187]      // 000000008B88: D3B04036 1EE85D36
	v_exp_f32_e32 v52, v52                                     // 000000008B90: 7E684134
	v_exp_f32_e32 v53, v53                                     // 000000008B94: 7E6A4135
	v_exp_f32_e32 v54, v54                                     // 000000008B98: 7E6C4136
	v_exp_f32_e32 v55, v55                                     // 000000008B9C: 7E6E4137
	v_pk_fma_f32 v[56:57], v[56:57], s[46:47], v[186:187]      // 000000008BA0: D3B04038 1EE85D38
	v_pk_fma_f32 v[58:59], v[58:59], s[46:47], v[186:187]      // 000000008BA8: D3B0403A 1EE85D3A
	v_exp_f32_e32 v56, v56                                     // 000000008BB0: 7E704138
	v_exp_f32_e32 v57, v57                                     // 000000008BB4: 7E724139
	v_exp_f32_e32 v58, v58                                     // 000000008BB8: 7E74413A
	v_exp_f32_e32 v59, v59                                     // 000000008BBC: 7E76413B
	v_mul_f32_dpp v60, v130, v28 row_newbcast:0 row_mask:0xf bank_mask:0xf// 000000008BC0: 0A7838FA FF015082
	v_mul_f32_dpp v61, v130, v29 row_newbcast:1 row_mask:0xf bank_mask:0xf// 000000008BC8: 0A7A3AFA FF015182
	v_mul_f32_dpp v62, v130, v30 row_newbcast:2 row_mask:0xf bank_mask:0xf// 000000008BD0: 0A7C3CFA FF015282
	v_mul_f32_dpp v63, v130, v31 row_newbcast:3 row_mask:0xf bank_mask:0xf// 000000008BD8: 0A7E3EFA FF015382
	v_mul_f32_dpp v64, v130, v32 row_newbcast:4 row_mask:0xf bank_mask:0xf// 000000008BE0: 0A8040FA FF015482
	v_mul_f32_dpp v65, v130, v33 row_newbcast:5 row_mask:0xf bank_mask:0xf// 000000008BE8: 0A8242FA FF015582
	v_mul_f32_dpp v66, v130, v34 row_newbcast:6 row_mask:0xf bank_mask:0xf// 000000008BF0: 0A8444FA FF015682
	v_mul_f32_dpp v67, v130, v35 row_newbcast:7 row_mask:0xf bank_mask:0xf// 000000008BF8: 0A8646FA FF015782
	v_mul_f32_dpp v68, v130, v36 row_newbcast:8 row_mask:0xf bank_mask:0xf// 000000008C00: 0A8848FA FF015882
	v_mul_f32_dpp v69, v130, v37 row_newbcast:9 row_mask:0xf bank_mask:0xf// 000000008C08: 0A8A4AFA FF015982
	v_mul_f32_dpp v70, v130, v38 row_newbcast:10 row_mask:0xf bank_mask:0xf// 000000008C10: 0A8C4CFA FF015A82
	v_mul_f32_dpp v71, v130, v39 row_newbcast:11 row_mask:0xf bank_mask:0xf// 000000008C18: 0A8E4EFA FF015B82
	v_mul_f32_dpp v72, v130, v40 row_newbcast:12 row_mask:0xf bank_mask:0xf// 000000008C20: 0A9050FA FF015C82
	v_mul_f32_dpp v73, v130, v41 row_newbcast:13 row_mask:0xf bank_mask:0xf// 000000008C28: 0A9252FA FF015D82
	v_mul_f32_dpp v74, v130, v42 row_newbcast:14 row_mask:0xf bank_mask:0xf// 000000008C30: 0A9454FA FF015E82
	v_mul_f32_dpp v75, v130, v43 row_newbcast:15 row_mask:0xf bank_mask:0xf// 000000008C38: 0A9656FA FF015F82
	v_mul_f32_dpp v76, v130, v44 row_newbcast:0 row_mask:0xf bank_mask:0xf// 000000008C40: 0A9858FA FF015082
	v_mul_f32_dpp v77, v130, v45 row_newbcast:1 row_mask:0xf bank_mask:0xf// 000000008C48: 0A9A5AFA FF015182
	v_mul_f32_dpp v78, v130, v46 row_newbcast:2 row_mask:0xf bank_mask:0xf// 000000008C50: 0A9C5CFA FF015282
	v_mul_f32_dpp v79, v130, v47 row_newbcast:3 row_mask:0xf bank_mask:0xf// 000000008C58: 0A9E5EFA FF015382
	v_mul_f32_dpp v80, v130, v48 row_newbcast:4 row_mask:0xf bank_mask:0xf// 000000008C60: 0AA060FA FF015482
	v_mul_f32_dpp v81, v130, v49 row_newbcast:5 row_mask:0xf bank_mask:0xf// 000000008C68: 0AA262FA FF015582
	v_mul_f32_dpp v82, v130, v50 row_newbcast:6 row_mask:0xf bank_mask:0xf// 000000008C70: 0AA464FA FF015682
	v_mul_f32_dpp v83, v130, v51 row_newbcast:7 row_mask:0xf bank_mask:0xf// 000000008C78: 0AA666FA FF015782
	v_mul_f32_dpp v84, v130, v52 row_newbcast:8 row_mask:0xf bank_mask:0xf// 000000008C80: 0AA868FA FF015882
	v_mul_f32_dpp v85, v130, v53 row_newbcast:9 row_mask:0xf bank_mask:0xf// 000000008C88: 0AAA6AFA FF015982
	v_mul_f32_dpp v86, v130, v54 row_newbcast:10 row_mask:0xf bank_mask:0xf// 000000008C90: 0AAC6CFA FF015A82
	v_mul_f32_dpp v87, v130, v55 row_newbcast:11 row_mask:0xf bank_mask:0xf// 000000008C98: 0AAE6EFA FF015B82
	v_mul_f32_dpp v88, v130, v56 row_newbcast:12 row_mask:0xf bank_mask:0xf// 000000008CA0: 0AB070FA FF015C82
	v_mul_f32_dpp v89, v130, v57 row_newbcast:13 row_mask:0xf bank_mask:0xf// 000000008CA8: 0AB272FA FF015D82
	v_mul_f32_dpp v90, v130, v58 row_newbcast:14 row_mask:0xf bank_mask:0xf// 000000008CB0: 0AB474FA FF015E82
	v_mul_f32_dpp v91, v130, v59 row_newbcast:15 row_mask:0xf bank_mask:0xf// 000000008CB8: 0AB676FA FF015F82
	v_mov_b32_e32 v150, 0x358637bd                             // 000000008CC0: 7F2C02FF 358637BD
	v_max3_f32 v150, |v60|, |v61|, v150                        // 000000008CC8: D1D30396 065A7B3C
	v_max3_f32 v150, |v62|, |v63|, v150                        // 000000008CD0: D1D30396 065A7F3E
	v_max3_f32 v150, |v64|, |v65|, v150                        // 000000008CD8: D1D30396 065A8340
	v_max3_f32 v150, |v66|, |v67|, v150                        // 000000008CE0: D1D30396 065A8742
	v_max3_f32 v150, |v68|, |v69|, v150                        // 000000008CE8: D1D30396 065A8B44
	v_max3_f32 v150, |v70|, |v71|, v150                        // 000000008CF0: D1D30396 065A8F46
	v_max3_f32 v150, |v72|, |v73|, v150                        // 000000008CF8: D1D30396 065A9348
	v_max3_f32 v150, |v74|, |v75|, v150                        // 000000008D00: D1D30396 065A974A
	v_mov_b32_e32 v151, 0x358637bd                             // 000000008D08: 7F2E02FF 358637BD
	v_max3_f32 v151, |v76|, |v77|, v151                        // 000000008D10: D1D30397 065E9B4C
	v_max3_f32 v151, |v78|, |v79|, v151                        // 000000008D18: D1D30397 065E9F4E
	v_max3_f32 v151, |v80|, |v81|, v151                        // 000000008D20: D1D30397 065EA350
	v_max3_f32 v151, |v82|, |v83|, v151                        // 000000008D28: D1D30397 065EA752
	v_max3_f32 v151, |v84|, |v85|, v151                        // 000000008D30: D1D30397 065EAB54
	v_max3_f32 v151, |v86|, |v87|, v151                        // 000000008D38: D1D30397 065EAF56
	v_max3_f32 v151, |v88|, |v89|, v151                        // 000000008D40: D1D30397 065EB358
	v_max3_f32 v151, |v90|, |v91|, v151                        // 000000008D48: D1D30397 065EB75A
	ds_write_b64 v220, v[150:151] offset:2304                  // 000000008D50: D89A0900 000096DC
	buffer_load_dword v129, v208, s[20:23], 0 offen            // 000000008D58: E0501000 800581D0
	v_sub_f32_e32 v142, v138, v140                             // 000000008D60: 051D198A
	v_cmp_eq_u32_e64 s[98:99], v197, v138                      // 000000008D64: D0CA0062 000315C5
	v_cndmask_b32_e64 v142, v142, 0, s[98:99]                  // 000000008D6C: D100008E 0189018E
	v_mov_b32_e32 v138, v140                                   // 000000008D74: 7F14038C
	v_mul_f32_e32 v142, s46, v142                              // 000000008D78: 0B1D1C2E
	v_exp_f32_e32 v142, v142                                   // 000000008D7C: 7F1C418E
	v_sub_f32_e32 v144, v139, v141                             // 000000008D80: 05211B8B
	v_cmp_eq_u32_e64 s[98:99], v197, v139                      // 000000008D84: D0CA0062 000317C5
	v_cndmask_b32_e64 v144, v144, 0, s[98:99]                  // 000000008D8C: D1000090 01890190
	v_mov_b32_e32 v139, v141                                   // 000000008D94: 7F16038D
	v_mul_f32_e32 v144, s46, v144                              // 000000008D98: 0B21202E
	v_exp_f32_e32 v144, v144                                   // 000000008D9C: 7F204190
	v_mov_b32_e32 v143, v142                                   // 000000008DA0: 7F1E038E
	v_mov_b32_e32 v145, v144                                   // 000000008DA4: 7F220390
	buffer_load_dword v131, v209, s[24:27], 0 offen            // 000000008DA8: E0501000 800683D1
	s_waitcnt lgkmcnt(0)                                       // 000000008DB0: BF8CC07F
	s_barrier                                                  // 000000008DB4: BF8A0000
	v_mul_f32_e32 v146, v142, v146                             // 000000008DB8: 0B25258E
	v_mov_b32_e32 v147, 0                                      // 000000008DBC: 7F260280
	v_pk_add_f32 v[146:147], v[28:29], v[146:147]              // 000000008DC0: D3B24092 1803251C
	v_pk_add_f32 v[146:147], v[30:31], v[146:147]              // 000000008DC8: D3B24092 1803251E
	v_pk_add_f32 v[146:147], v[32:33], v[146:147]              // 000000008DD0: D3B24092 18032520
	v_pk_add_f32 v[146:147], v[34:35], v[146:147]              // 000000008DD8: D3B24092 18032522
	v_pk_add_f32 v[146:147], v[36:37], v[146:147]              // 000000008DE0: D3B24092 18032524
	v_pk_add_f32 v[146:147], v[38:39], v[146:147]              // 000000008DE8: D3B24092 18032526
	v_pk_add_f32 v[146:147], v[40:41], v[146:147]              // 000000008DF0: D3B24092 18032528
	v_pk_add_f32 v[146:147], v[42:43], v[146:147]              // 000000008DF8: D3B24092 1803252A
	v_add_f32_e32 v146, v147, v146                             // 000000008E00: 03252593
	v_mul_f32_e32 v148, v144, v148                             // 000000008E04: 0B292990
	v_mov_b32_e32 v149, 0                                      // 000000008E08: 7F2A0280
	v_pk_add_f32 v[148:149], v[44:45], v[148:149]              // 000000008E0C: D3B24094 1803292C
	v_pk_add_f32 v[148:149], v[46:47], v[148:149]              // 000000008E14: D3B24094 1803292E
	v_pk_add_f32 v[148:149], v[48:49], v[148:149]              // 000000008E1C: D3B24094 18032930
	v_pk_add_f32 v[148:149], v[50:51], v[148:149]              // 000000008E24: D3B24094 18032932
	v_pk_add_f32 v[148:149], v[52:53], v[148:149]              // 000000008E2C: D3B24094 18032934
	v_pk_add_f32 v[148:149], v[54:55], v[148:149]              // 000000008E34: D3B24094 18032936
	v_pk_add_f32 v[148:149], v[56:57], v[148:149]              // 000000008E3C: D3B24094 18032938
	v_pk_add_f32 v[148:149], v[58:59], v[148:149]              // 000000008E44: D3B24094 1803293A
	v_add_f32_e32 v148, v149, v148                             // 000000008E4C: 03292995
	ds_read_b64 v[154:155], v221 offset:2304                   // 000000008E50: D8EC0900 9A0000DD
	ds_read_b64 v[156:157], v221 offset:2432                   // 000000008E58: D8EC0980 9C0000DD
	ds_read_b64 v[158:159], v221 offset:2560                   // 000000008E60: D8EC0A00 9E0000DD
	ds_read_b64 v[160:161], v221 offset:2688                   // 000000008E68: D8EC0A80 A00000DD
	ds_read_b64 v[162:163], v221 offset:2816                   // 000000008E70: D8EC0B00 A20000DD
	ds_read_b64 v[164:165], v221 offset:2944                   // 000000008E78: D8EC0B80 A40000DD
	ds_read_b64 v[166:167], v221 offset:3072                   // 000000008E80: D8EC0C00 A60000DD
	ds_read_b64 v[168:169], v221 offset:3200                   // 000000008E88: D8EC0C80 A80000DD
	ds_read_b64 v[170:171], v221 offset:3328                   // 000000008E90: D8EC0D00 AA0000DD
	ds_read_b64 v[172:173], v221 offset:3456                   // 000000008E98: D8EC0D80 AC0000DD
	ds_read_b64 v[174:175], v221 offset:3584                   // 000000008EA0: D8EC0E00 AE0000DD
	ds_read_b64 v[176:177], v221 offset:3712                   // 000000008EA8: D8EC0E80 B00000DD
	ds_read_b64 v[178:179], v221 offset:3840                   // 000000008EB0: D8EC0F00 B20000DD
	ds_read_b64 v[180:181], v221 offset:3968                   // 000000008EB8: D8EC0F80 B40000DD
	ds_read_b64 v[182:183], v221 offset:4096                   // 000000008EC0: D8EC1000 B60000DD
	ds_read_b64 v[184:185], v221 offset:4224                   // 000000008EC8: D8EC1080 B80000DD
	s_waitcnt lgkmcnt(0)                                       // 000000008ED0: BF8CC07F
	v_max3_f32 v150, v154, v156, v150                          // 000000008ED4: D1D30096 065B399A
	v_max3_f32 v151, v155, v157, v151                          // 000000008EDC: D1D30097 065F3B9B
	v_max3_f32 v150, v158, v160, v150                          // 000000008EE4: D1D30096 065B419E
	v_max3_f32 v151, v159, v161, v151                          // 000000008EEC: D1D30097 065F439F
	v_max3_f32 v150, v162, v164, v150                          // 000000008EF4: D1D30096 065B49A2
	v_max3_f32 v151, v163, v165, v151                          // 000000008EFC: D1D30097 065F4BA3
	v_max3_f32 v150, v166, v168, v150                          // 000000008F04: D1D30096 065B51A6
	v_max3_f32 v151, v167, v169, v151                          // 000000008F0C: D1D30097 065F53A7
	v_max3_f32 v150, v170, v172, v150                          // 000000008F14: D1D30096 065B59AA
	v_max3_f32 v151, v171, v173, v151                          // 000000008F1C: D1D30097 065F5BAB
	v_max3_f32 v150, v174, v176, v150                          // 000000008F24: D1D30096 065B61AE
	v_max3_f32 v151, v175, v177, v151                          // 000000008F2C: D1D30097 065F63AF
	v_max3_f32 v150, v178, v180, v150                          // 000000008F34: D1D30096 065B69B2
	v_max3_f32 v151, v179, v181, v151                          // 000000008F3C: D1D30097 065F6BB3
	v_max3_f32 v150, v182, v184, v150                          // 000000008F44: D1D30096 065B71B6
	v_max3_f32 v151, v183, v185, v151                          // 000000008F4C: D1D30097 065F73B7
	v_rcp_f32_e32 v150, v150                                   // 000000008F54: 7F2C4596
	v_rcp_f32_e32 v151, v151                                   // 000000008F58: 7F2E4597
	v_mul_f32_e32 v150, 0x43700000, v150                       // 000000008F5C: 0B2D2CFF 43700000
	v_mul_f32_e32 v151, 0x43700000, v151                       // 000000008F64: 0B2F2EFF 43700000
	v_mov_b32_e32 v152, v151                                   // 000000008F6C: 7F300397
	v_mov_b32_e32 v153, v151                                   // 000000008F70: 7F320397
	v_mov_b32_e32 v151, v150                                   // 000000008F74: 7F2E0396
	v_pk_mul_f32 v[28:29], v[150:151], v[60:61]                // 000000008F78: D3B1401C 18027996
	v_pk_mul_f32 v[30:31], v[150:151], v[62:63]                // 000000008F80: D3B1401E 18027D96
	v_pk_mul_f32 v[32:33], v[150:151], v[64:65]                // 000000008F88: D3B14020 18028196
	v_pk_mul_f32 v[34:35], v[150:151], v[66:67]                // 000000008F90: D3B14022 18028596
	v_pk_mul_f32 v[36:37], v[150:151], v[68:69]                // 000000008F98: D3B14024 18028996
	v_pk_mul_f32 v[38:39], v[150:151], v[70:71]                // 000000008FA0: D3B14026 18028D96
	v_pk_mul_f32 v[40:41], v[150:151], v[72:73]                // 000000008FA8: D3B14028 18029196
	v_pk_mul_f32 v[42:43], v[150:151], v[74:75]                // 000000008FB0: D3B1402A 18029596
	v_pk_mul_f32 v[44:45], v[152:153], v[76:77]                // 000000008FB8: D3B1402C 18029998
	v_pk_mul_f32 v[46:47], v[152:153], v[78:79]                // 000000008FC0: D3B1402E 18029D98
	v_pk_mul_f32 v[48:49], v[152:153], v[80:81]                // 000000008FC8: D3B14030 1802A198
	v_pk_mul_f32 v[50:51], v[152:153], v[82:83]                // 000000008FD0: D3B14032 1802A598
	v_pk_mul_f32 v[52:53], v[152:153], v[84:85]                // 000000008FD8: D3B14034 1802A998
	v_pk_mul_f32 v[54:55], v[152:153], v[86:87]                // 000000008FE0: D3B14036 1802AD98
	v_pk_mul_f32 v[56:57], v[152:153], v[88:89]                // 000000008FE8: D3B14038 1802B198
	v_pk_mul_f32 v[58:59], v[152:153], v[90:91]                // 000000008FF0: D3B1403A 1802B598
	v_cvt_pk_fp8_f32 v28, v28, v29                             // 000000008FF8: D2A2001C 00023B1C
	v_cvt_pk_fp8_f32 v28, v30, v31 op_sel:[0,0,1]              // 000000009000: D2A2401C 00023F1E
	v_cvt_pk_fp8_f32 v29, v32, v33                             // 000000009008: D2A2001D 00024320
	v_cvt_pk_fp8_f32 v29, v34, v35 op_sel:[0,0,1]              // 000000009010: D2A2401D 00024722
	v_cvt_pk_fp8_f32 v30, v36, v37                             // 000000009018: D2A2001E 00024B24
	v_cvt_pk_fp8_f32 v30, v38, v39 op_sel:[0,0,1]              // 000000009020: D2A2401E 00024F26
	v_cvt_pk_fp8_f32 v31, v40, v41                             // 000000009028: D2A2001F 00025328
	v_cvt_pk_fp8_f32 v31, v42, v43 op_sel:[0,0,1]              // 000000009030: D2A2401F 0002572A
	v_cvt_pk_fp8_f32 v32, v44, v45                             // 000000009038: D2A20020 00025B2C
	v_cvt_pk_fp8_f32 v32, v46, v47 op_sel:[0,0,1]              // 000000009040: D2A24020 00025F2E
	v_cvt_pk_fp8_f32 v33, v48, v49                             // 000000009048: D2A20021 00026330
	v_cvt_pk_fp8_f32 v33, v50, v51 op_sel:[0,0,1]              // 000000009050: D2A24021 00026732
	v_cvt_pk_fp8_f32 v34, v52, v53                             // 000000009058: D2A20022 00026B34
	v_cvt_pk_fp8_f32 v34, v54, v55 op_sel:[0,0,1]              // 000000009060: D2A24022 00026F36
	v_cvt_pk_fp8_f32 v35, v56, v57                             // 000000009068: D2A20023 00027338
	v_cvt_pk_fp8_f32 v35, v58, v59 op_sel:[0,0,1]              // 000000009070: D2A24023 0002773A
	ds_write_b32 v222, v28 offset:4608                         // 000000009078: D81A1200 00001CDE
	ds_write_b32 v222, v29 offset:5632                         // 000000009080: D81A1600 00001DDE
	ds_write_b32 v222, v30 offset:6656                         // 000000009088: D81A1A00 00001EDE
	ds_write_b32 v222, v31 offset:7680                         // 000000009090: D81A1E00 00001FDE
	ds_write_b32 v222, v32 offset:8704                         // 000000009098: D81A2200 000020DE
	ds_write_b32 v222, v33 offset:9728                         // 0000000090A0: D81A2600 000021DE
	ds_write_b32 v222, v34 offset:10752                        // 0000000090A8: D81A2A00 000022DE
	ds_write_b32 v222, v35 offset:11776                        // 0000000090B0: D81A2E00 000023DE
	v_rcp_f32_e32 v132, v150                                   // 0000000090B8: 7F084596
	v_rcp_f32_e32 v134, v152                                   // 0000000090BC: 7F0C4598
	v_mov_b32_e32 v133, v132                                   // 0000000090C0: 7F0A0384
	v_mov_b32_e32 v135, v134                                   // 0000000090C4: 7F0E0386
	v_pk_add_f32 v[108:109], v[108:109], v[92:93]              // 0000000090C8: D3B2406C 1802B96C
	v_pk_add_f32 v[110:111], v[110:111], v[94:95]              // 0000000090D0: D3B2406E 1802BD6E
	v_pk_add_f32 v[112:113], v[112:113], v[96:97]              // 0000000090D8: D3B24070 1802C170
	v_pk_add_f32 v[114:115], v[114:115], v[98:99]              // 0000000090E0: D3B24072 1802C572
	v_pk_add_f32 v[116:117], v[116:117], v[100:101]            // 0000000090E8: D3B24074 1802C974
	v_pk_add_f32 v[118:119], v[118:119], v[102:103]            // 0000000090F0: D3B24076 1802CD76
	v_pk_add_f32 v[120:121], v[120:121], v[104:105]            // 0000000090F8: D3B24078 1802D178
	v_pk_add_f32 v[122:123], v[122:123], v[106:107]            // 000000009100: D3B2407A 1802D57A
	s_waitcnt lgkmcnt(0)                                       // 000000009108: BF8CC07F
	s_barrier                                                  // 00000000910C: BF8A0000
	ds_read_b128 v[28:31], v223 offset:4608                    // 000000009110: D9FE1200 1C0000DF
	ds_read_b128 v[32:35], v223 offset:5632                    // 000000009118: D9FE1600 200000DF
	ds_read_b128 v[36:39], v223 offset:6656                    // 000000009120: D9FE1A00 240000DF
	ds_read_b128 v[40:43], v223 offset:7680                    // 000000009128: D9FE1E00 280000DF
	ds_read_b128 v[44:47], v223 offset:8704                    // 000000009130: D9FE2200 2C0000DF
	ds_read_b128 v[48:51], v223 offset:9728                    // 000000009138: D9FE2600 300000DF
	ds_read_b128 v[52:55], v223 offset:10752                   // 000000009140: D9FE2A00 340000DF
	ds_read_b128 v[56:59], v223 offset:11776                   // 000000009148: D9FE2E00 380000DF
	s_waitcnt vmcnt(10)                                        // 000000009150: BF8C0F7A
	s_waitcnt lgkmcnt(7)                                       // 000000009154: BF8CC77F
	v_mfma_f32_16x16x32_fp8_fp8 v[92:95], a[64:65], v[28:29], 0// 000000009158: D3F3005C 0A023940
	v_mfma_f32_16x16x32_fp8_fp8 v[96:99], a[80:81], v[28:29], 0// 000000009160: D3F30060 0A023950
	v_mfma_f32_16x16x32_fp8_fp8 v[92:95], a[66:67], v[30:31], v[92:95]// 000000009168: D3F3005C 0D723D42
	buffer_load_dwordx4 a[96:99], v204, s[16:19], 0 offen      // 000000009170: E05C1000 808460CC
	v_mfma_f32_16x16x32_fp8_fp8 v[96:99], a[82:83], v[30:31], v[96:99]// 000000009178: D3F30060 0D823D52
	s_waitcnt lgkmcnt(6)                                       // 000000009180: BF8CC67F
	v_mfma_f32_16x16x32_fp8_fp8 v[92:95], a[68:69], v[32:33], v[92:95]// 000000009184: D3F3005C 0D724144
	v_mfma_f32_16x16x32_fp8_fp8 v[96:99], a[84:85], v[32:33], v[96:99]// 00000000918C: D3F30060 0D824154
	v_mfma_f32_16x16x32_fp8_fp8 v[92:95], a[70:71], v[34:35], v[92:95]// 000000009194: D3F3005C 0D724546
	buffer_load_dwordx4 a[100:103], v205, s[16:19], 0 offen    // 00000000919C: E05C1000 808464CD
	v_mfma_f32_16x16x32_fp8_fp8 v[96:99], a[86:87], v[34:35], v[96:99]// 0000000091A4: D3F30060 0D824556
	s_waitcnt lgkmcnt(5)                                       // 0000000091AC: BF8CC57F
	v_mfma_f32_16x16x32_fp8_fp8 v[92:95], a[72:73], v[36:37], v[92:95]// 0000000091B0: D3F3005C 0D724948
	v_mfma_f32_16x16x32_fp8_fp8 v[96:99], a[88:89], v[36:37], v[96:99]// 0000000091B8: D3F30060 0D824958
	v_mfma_f32_16x16x32_fp8_fp8 v[92:95], a[74:75], v[38:39], v[92:95]// 0000000091C0: D3F3005C 0D724D4A
	buffer_load_dwordx4 a[104:107], v206, s[16:19], 0 offen    // 0000000091C8: E05C1000 808468CE
	v_mfma_f32_16x16x32_fp8_fp8 v[96:99], a[90:91], v[38:39], v[96:99]// 0000000091D0: D3F30060 0D824D5A
	s_waitcnt lgkmcnt(4)                                       // 0000000091D8: BF8CC47F
	v_mfma_f32_16x16x32_fp8_fp8 v[92:95], a[76:77], v[40:41], v[92:95]// 0000000091DC: D3F3005C 0D72514C
	v_mfma_f32_16x16x32_fp8_fp8 v[96:99], a[92:93], v[40:41], v[96:99]// 0000000091E4: D3F30060 0D82515C
	v_mfma_f32_16x16x32_fp8_fp8 v[92:95], a[78:79], v[42:43], v[92:95]// 0000000091EC: D3F3005C 0D72554E
	buffer_load_dwordx4 a[108:111], v207, s[16:19], 0 offen    // 0000000091F4: E05C1000 80846CCF
	v_mfma_f32_16x16x32_fp8_fp8 v[96:99], a[94:95], v[42:43], v[96:99]// 0000000091FC: D3F30060 0D82555E
	s_waitcnt lgkmcnt(3)                                       // 000000009204: BF8CC37F
	v_mfma_f32_16x16x32_fp8_fp8 v[100:103], a[64:65], v[44:45], 0// 000000009208: D3F30064 0A025940
	v_mfma_f32_16x16x32_fp8_fp8 v[104:107], a[80:81], v[44:45], 0// 000000009210: D3F30068 0A025950
	v_mfma_f32_16x16x32_fp8_fp8 v[100:103], a[66:67], v[46:47], v[100:103]// 000000009218: D3F30064 0D925D42
	buffer_load_dwordx4 a[112:115], v204, s[16:19], 0 offen offset:1024// 000000009220: E05C1400 808470CC
	v_mfma_f32_16x16x32_fp8_fp8 v[104:107], a[82:83], v[46:47], v[104:107]// 000000009228: D3F30068 0DA25D52
	s_waitcnt lgkmcnt(2)                                       // 000000009230: BF8CC27F
	v_mfma_f32_16x16x32_fp8_fp8 v[100:103], a[68:69], v[48:49], v[100:103]// 000000009234: D3F30064 0D926144
	v_mfma_f32_16x16x32_fp8_fp8 v[104:107], a[84:85], v[48:49], v[104:107]// 00000000923C: D3F30068 0DA26154
	v_mfma_f32_16x16x32_fp8_fp8 v[100:103], a[70:71], v[50:51], v[100:103]// 000000009244: D3F30064 0D926546
	buffer_load_dwordx4 a[116:119], v205, s[16:19], 0 offen offset:1024// 00000000924C: E05C1400 808474CD
	v_mfma_f32_16x16x32_fp8_fp8 v[104:107], a[86:87], v[50:51], v[104:107]// 000000009254: D3F30068 0DA26556
	s_waitcnt lgkmcnt(1)                                       // 00000000925C: BF8CC17F
	v_mfma_f32_16x16x32_fp8_fp8 v[100:103], a[72:73], v[52:53], v[100:103]// 000000009260: D3F30064 0D926948
	v_mfma_f32_16x16x32_fp8_fp8 v[104:107], a[88:89], v[52:53], v[104:107]// 000000009268: D3F30068 0DA26958
	v_mfma_f32_16x16x32_fp8_fp8 v[100:103], a[74:75], v[54:55], v[100:103]// 000000009270: D3F30064 0D926D4A
	buffer_load_dwordx4 a[120:123], v206, s[16:19], 0 offen offset:1024// 000000009278: E05C1400 808478CE
	v_mfma_f32_16x16x32_fp8_fp8 v[104:107], a[90:91], v[54:55], v[104:107]// 000000009280: D3F30068 0DA26D5A
	s_waitcnt lgkmcnt(0)                                       // 000000009288: BF8CC07F
	v_mfma_f32_16x16x32_fp8_fp8 v[100:103], a[76:77], v[56:57], v[100:103]// 00000000928C: D3F30064 0D92714C
	v_mfma_f32_16x16x32_fp8_fp8 v[104:107], a[92:93], v[56:57], v[104:107]// 000000009294: D3F30068 0DA2715C
	v_mfma_f32_16x16x32_fp8_fp8 v[100:103], a[78:79], v[58:59], v[100:103]// 00000000929C: D3F30064 0D92754E
	buffer_load_dwordx4 a[124:127], v207, s[16:19], 0 offen offset:1024// 0000000092A4: E05C1400 80847CCF
	v_mfma_f32_16x16x32_fp8_fp8 v[104:107], a[94:95], v[58:59], v[104:107]// 0000000092AC: D3F30068 0DA2755E
	s_addk_i32 s64, 0x100                                      // 0000000092B4: B7400100
	s_cmp_lt_i32 s64, s63                                      // 0000000092B8: BF043F40
	s_cbranch_scc0 label_2FAE                                  // 0000000092BC: BF8414FE
	s_waitcnt vmcnt(10)                                        // 0000000092C0: BF8C0F7A
	v_mfma_f32_16x16x32_fp8_fp8 v[28:31], a[32:33], v[12:13], 0// 0000000092C4: D3F3001C 0A021920
	s_add_u32 s12, s86, s69                                    // 0000000092CC: 800C4556
	s_addc_u32 s13, s87, 0                                     // 0000000092D0: 820D8057
	v_mfma_f32_16x16x32_fp8_fp8 v[28:31], a[34:35], v[14:15], v[28:31]// 0000000092D4: D3F3001C 0C721D22
	s_add_u32 s16, s88, s70                                    // 0000000092DC: 80104658
	s_addc_u32 s17, s89, 0                                     // 0000000092E0: 82118059
	v_mfma_f32_16x16x32_fp8_fp8 v[28:31], a[36:37], v[16:17], v[28:31]// 0000000092E4: D3F3001C 0C722124
	buffer_load_dwordx4 a[0:3], v202, s[12:15], 0 offen        // 0000000092EC: E05C1000 808300CA
	v_mfma_f32_16x16x32_fp8_fp8 v[28:31], a[38:39], v[18:19], v[28:31]// 0000000092F4: D3F3001C 0C722526
	s_add_u32 s20, s90, s71                                    // 0000000092FC: 8014475A
	s_addc_u32 s21, s91, 0                                     // 000000009300: 8215805B
	v_mfma_f32_16x16x32_fp8_fp8 v[32:35], a[40:41], v[12:13], 0// 000000009304: D3F30020 0A021928
	s_add_u32 s24, s92, s71                                    // 00000000930C: 8018475C
	s_addc_u32 s25, s93, 0                                     // 000000009310: 8219805D
	v_mfma_f32_16x16x32_fp8_fp8 v[32:35], a[42:43], v[14:15], v[32:35]// 000000009314: D3F30020 0C821D2A
	s_add_u32 s69, s69, 0x1000                                 // 00000000931C: 8045FF45 00001000
	s_add_u32 s70, s70, 0x8000                                 // 000000009324: 8046FF46 00008000
	v_mfma_f32_16x16x32_fp8_fp8 v[32:35], a[44:45], v[16:17], v[32:35]// 00000000932C: D3F30020 0C82212C
	buffer_load_dwordx4 a[4:7], v203, s[12:15], 0 offen        // 000000009334: E05C1000 808304CB
	v_mfma_f32_16x16x32_fp8_fp8 v[32:35], a[46:47], v[18:19], v[32:35]// 00000000933C: D3F30020 0C82252E
	s_add_u32 s71, s71, 0x400                                  // 000000009344: 8047FF47 00000400
	v_mfma_f32_16x16x32_fp8_fp8 v[36:39], a[48:49], v[12:13], 0// 00000000934C: D3F30024 0A021930
	v_mfma_f32_16x16x32_fp8_fp8 v[36:39], a[50:51], v[14:15], v[36:39]// 000000009354: D3F30024 0C921D32
	v_mfma_f32_16x16x32_fp8_fp8 v[36:39], a[52:53], v[16:17], v[36:39]// 00000000935C: D3F30024 0C922134
	buffer_load_dwordx4 a[8:11], v202, s[12:15], 0 offen offset:1024// 000000009364: E05C1400 808308CA
	v_mfma_f32_16x16x32_fp8_fp8 v[36:39], a[54:55], v[18:19], v[36:39]// 00000000936C: D3F30024 0C922536
	v_mfma_f32_16x16x32_fp8_fp8 v[40:43], a[56:57], v[12:13], 0// 000000009374: D3F30028 0A021938
	v_mfma_f32_16x16x32_fp8_fp8 v[40:43], a[58:59], v[14:15], v[40:43]// 00000000937C: D3F30028 0CA21D3A
	v_mfma_f32_16x16x32_fp8_fp8 v[40:43], a[60:61], v[16:17], v[40:43]// 000000009384: D3F30028 0CA2213C
	buffer_load_dwordx4 a[12:15], v203, s[12:15], 0 offen offset:1024// 00000000938C: E05C1400 80830CCB
	v_mfma_f32_16x16x32_fp8_fp8 v[40:43], a[62:63], v[18:19], v[40:43]// 000000009394: D3F30028 0CA2253E
	v_mfma_f32_16x16x32_fp8_fp8 v[44:47], a[32:33], v[20:21], 0// 00000000939C: D3F3002C 0A022920
	v_mfma_f32_16x16x32_fp8_fp8 v[44:47], a[34:35], v[22:23], v[44:47]// 0000000093A4: D3F3002C 0CB22D22
	v_mfma_f32_16x16x32_fp8_fp8 v[44:47], a[36:37], v[24:25], v[44:47]// 0000000093AC: D3F3002C 0CB23124
	buffer_load_dwordx4 a[16:19], v202, s[12:15], 0 offen offset:2048// 0000000093B4: E05C1800 808310CA
	v_mfma_f32_16x16x32_fp8_fp8 v[44:47], a[38:39], v[26:27], v[44:47]// 0000000093BC: D3F3002C 0CB23526
	v_mfma_f32_16x16x32_fp8_fp8 v[48:51], a[40:41], v[20:21], 0// 0000000093C4: D3F30030 0A022928
	v_mfma_f32_16x16x32_fp8_fp8 v[48:51], a[42:43], v[22:23], v[48:51]// 0000000093CC: D3F30030 0CC22D2A
	v_mfma_f32_16x16x32_fp8_fp8 v[48:51], a[44:45], v[24:25], v[48:51]// 0000000093D4: D3F30030 0CC2312C
	buffer_load_dwordx4 a[20:23], v203, s[12:15], 0 offen offset:2048// 0000000093DC: E05C1800 808314CB
	v_mfma_f32_16x16x32_fp8_fp8 v[48:51], a[46:47], v[26:27], v[48:51]// 0000000093E4: D3F30030 0CC2352E
	v_mfma_f32_16x16x32_fp8_fp8 v[52:55], a[48:49], v[20:21], 0// 0000000093EC: D3F30034 0A022930
	v_mfma_f32_16x16x32_fp8_fp8 v[52:55], a[50:51], v[22:23], v[52:55]// 0000000093F4: D3F30034 0CD22D32
	v_mfma_f32_16x16x32_fp8_fp8 v[52:55], a[52:53], v[24:25], v[52:55]// 0000000093FC: D3F30034 0CD23134
	buffer_load_dwordx4 a[24:27], v202, s[12:15], 0 offen offset:3072// 000000009404: E05C1C00 808318CA
	v_mfma_f32_16x16x32_fp8_fp8 v[52:55], a[54:55], v[26:27], v[52:55]// 00000000940C: D3F30034 0CD23536
	v_mfma_f32_16x16x32_fp8_fp8 v[56:59], a[56:57], v[20:21], 0// 000000009414: D3F30038 0A022938
	v_mfma_f32_16x16x32_fp8_fp8 v[56:59], a[58:59], v[22:23], v[56:59]// 00000000941C: D3F30038 0CE22D3A
	v_mfma_f32_16x16x32_fp8_fp8 v[56:59], a[60:61], v[24:25], v[56:59]// 000000009424: D3F30038 0CE2313C
	buffer_load_dwordx4 a[28:31], v203, s[12:15], 0 offen offset:3072// 00000000942C: E05C1C00 80831CCB
	v_mfma_f32_16x16x32_fp8_fp8 v[56:59], a[62:63], v[26:27], v[56:59]// 000000009434: D3F30038 0CE2353E
	s_waitcnt vmcnt(16)                                        // 00000000943C: BF8C4F70
	v_pk_mul_f32 v[28:29], v[124:125], v[28:29]                // 000000009440: D3B1401C 1802397C
	v_pk_mul_f32 v[30:31], v[124:125], v[30:31]                // 000000009448: D3B1401E 18023D7C
	v_mul_f32_dpp v28, v129, v28 row_newbcast:0 row_mask:0xf bank_mask:0xf// 000000009450: 0A3838FA FF015081
	v_mul_f32_dpp v29, v129, v29 row_newbcast:1 row_mask:0xf bank_mask:0xf// 000000009458: 0A3A3AFA FF015181
	v_mul_f32_dpp v30, v129, v30 row_newbcast:2 row_mask:0xf bank_mask:0xf// 000000009460: 0A3C3CFA FF015281
	v_mul_f32_dpp v31, v129, v31 row_newbcast:3 row_mask:0xf bank_mask:0xf// 000000009468: 0A3E3EFA FF015381
	v_pk_mul_f32 v[32:33], v[124:125], v[32:33]                // 000000009470: D3B14020 1802417C
	v_pk_mul_f32 v[34:35], v[124:125], v[34:35]                // 000000009478: D3B14022 1802457C
	v_mul_f32_dpp v32, v129, v32 row_newbcast:4 row_mask:0xf bank_mask:0xf// 000000009480: 0A4040FA FF015481
	v_mul_f32_dpp v33, v129, v33 row_newbcast:5 row_mask:0xf bank_mask:0xf// 000000009488: 0A4242FA FF015581
	v_mul_f32_dpp v34, v129, v34 row_newbcast:6 row_mask:0xf bank_mask:0xf// 000000009490: 0A4444FA FF015681
	v_mul_f32_dpp v35, v129, v35 row_newbcast:7 row_mask:0xf bank_mask:0xf// 000000009498: 0A4646FA FF015781
	v_pk_mul_f32 v[36:37], v[124:125], v[36:37]                // 0000000094A0: D3B14024 1802497C
	v_pk_mul_f32 v[38:39], v[124:125], v[38:39]                // 0000000094A8: D3B14026 18024D7C
	v_mul_f32_dpp v36, v129, v36 row_newbcast:8 row_mask:0xf bank_mask:0xf// 0000000094B0: 0A4848FA FF015881
	v_mul_f32_dpp v37, v129, v37 row_newbcast:9 row_mask:0xf bank_mask:0xf// 0000000094B8: 0A4A4AFA FF015981
	v_mul_f32_dpp v38, v129, v38 row_newbcast:10 row_mask:0xf bank_mask:0xf// 0000000094C0: 0A4C4CFA FF015A81
	v_mul_f32_dpp v39, v129, v39 row_newbcast:11 row_mask:0xf bank_mask:0xf// 0000000094C8: 0A4E4EFA FF015B81
	v_pk_mul_f32 v[40:41], v[124:125], v[40:41]                // 0000000094D0: D3B14028 1802517C
	v_pk_mul_f32 v[42:43], v[124:125], v[42:43]                // 0000000094D8: D3B1402A 1802557C
	v_mul_f32_dpp v40, v129, v40 row_newbcast:12 row_mask:0xf bank_mask:0xf// 0000000094E0: 0A5050FA FF015C81
	v_mul_f32_dpp v41, v129, v41 row_newbcast:13 row_mask:0xf bank_mask:0xf// 0000000094E8: 0A5252FA FF015D81
	v_mul_f32_dpp v42, v129, v42 row_newbcast:14 row_mask:0xf bank_mask:0xf// 0000000094F0: 0A5454FA FF015E81
	v_mul_f32_dpp v43, v129, v43 row_newbcast:15 row_mask:0xf bank_mask:0xf// 0000000094F8: 0A5656FA FF015F81
	v_pk_mul_f32 v[44:45], v[126:127], v[44:45]                // 000000009500: D3B1402C 1802597E
	v_pk_mul_f32 v[46:47], v[126:127], v[46:47]                // 000000009508: D3B1402E 18025D7E
	v_mul_f32_dpp v44, v129, v44 row_newbcast:0 row_mask:0xf bank_mask:0xf// 000000009510: 0A5858FA FF015081
	v_mul_f32_dpp v45, v129, v45 row_newbcast:1 row_mask:0xf bank_mask:0xf// 000000009518: 0A5A5AFA FF015181
	v_mul_f32_dpp v46, v129, v46 row_newbcast:2 row_mask:0xf bank_mask:0xf// 000000009520: 0A5C5CFA FF015281
	v_mul_f32_dpp v47, v129, v47 row_newbcast:3 row_mask:0xf bank_mask:0xf// 000000009528: 0A5E5EFA FF015381
	v_pk_mul_f32 v[48:49], v[126:127], v[48:49]                // 000000009530: D3B14030 1802617E
	v_pk_mul_f32 v[50:51], v[126:127], v[50:51]                // 000000009538: D3B14032 1802657E
	v_mul_f32_dpp v48, v129, v48 row_newbcast:4 row_mask:0xf bank_mask:0xf// 000000009540: 0A6060FA FF015481
	v_mul_f32_dpp v49, v129, v49 row_newbcast:5 row_mask:0xf bank_mask:0xf// 000000009548: 0A6262FA FF015581
	v_mul_f32_dpp v50, v129, v50 row_newbcast:6 row_mask:0xf bank_mask:0xf// 000000009550: 0A6464FA FF015681
	v_mul_f32_dpp v51, v129, v51 row_newbcast:7 row_mask:0xf bank_mask:0xf// 000000009558: 0A6666FA FF015781
	v_pk_mul_f32 v[52:53], v[126:127], v[52:53]                // 000000009560: D3B14034 1802697E
	v_pk_mul_f32 v[54:55], v[126:127], v[54:55]                // 000000009568: D3B14036 18026D7E
	v_mul_f32_dpp v52, v129, v52 row_newbcast:8 row_mask:0xf bank_mask:0xf// 000000009570: 0A6868FA FF015881
	v_mul_f32_dpp v53, v129, v53 row_newbcast:9 row_mask:0xf bank_mask:0xf// 000000009578: 0A6A6AFA FF015981
	v_mul_f32_dpp v54, v129, v54 row_newbcast:10 row_mask:0xf bank_mask:0xf// 000000009580: 0A6C6CFA FF015A81
	v_mul_f32_dpp v55, v129, v55 row_newbcast:11 row_mask:0xf bank_mask:0xf// 000000009588: 0A6E6EFA FF015B81
	v_pk_mul_f32 v[56:57], v[126:127], v[56:57]                // 000000009590: D3B14038 1802717E
	v_pk_mul_f32 v[58:59], v[126:127], v[58:59]                // 000000009598: D3B1403A 1802757E
	v_mul_f32_dpp v56, v129, v56 row_newbcast:12 row_mask:0xf bank_mask:0xf// 0000000095A0: 0A7070FA FF015C81
	v_mul_f32_dpp v57, v129, v57 row_newbcast:13 row_mask:0xf bank_mask:0xf// 0000000095A8: 0A7272FA FF015D81
	v_mul_f32_dpp v58, v129, v58 row_newbcast:14 row_mask:0xf bank_mask:0xf// 0000000095B0: 0A7474FA FF015E81
	v_mul_f32_dpp v59, v129, v59 row_newbcast:15 row_mask:0xf bank_mask:0xf// 0000000095B8: 0A7676FA FF015F81
	v_mov_b32_e32 v150, v28                                    // 0000000095C0: 7F2C031C
	v_max3_f32 v150, v28, v29, v150                            // 0000000095C4: D1D30096 065A3B1C
	v_max3_f32 v150, v30, v31, v150                            // 0000000095CC: D1D30096 065A3F1E
	v_max3_f32 v150, v32, v33, v150                            // 0000000095D4: D1D30096 065A4320
	v_max3_f32 v150, v34, v35, v150                            // 0000000095DC: D1D30096 065A4722
	v_max3_f32 v150, v36, v37, v150                            // 0000000095E4: D1D30096 065A4B24
	v_max3_f32 v150, v38, v39, v150                            // 0000000095EC: D1D30096 065A4F26
	v_max3_f32 v150, v40, v41, v150                            // 0000000095F4: D1D30096 065A5328
	v_max3_f32 v150, v42, v43, v150                            // 0000000095FC: D1D30096 065A572A
	v_mov_b32_e32 v151, v44                                    // 000000009604: 7F2E032C
	v_max3_f32 v151, v44, v45, v151                            // 000000009608: D1D30097 065E5B2C
	v_max3_f32 v151, v46, v47, v151                            // 000000009610: D1D30097 065E5F2E
	v_max3_f32 v151, v48, v49, v151                            // 000000009618: D1D30097 065E6330
	v_max3_f32 v151, v50, v51, v151                            // 000000009620: D1D30097 065E6732
	v_max3_f32 v151, v52, v53, v151                            // 000000009628: D1D30097 065E6B34
	v_max3_f32 v151, v54, v55, v151                            // 000000009630: D1D30097 065E6F36
	v_max3_f32 v151, v56, v57, v151                            // 000000009638: D1D30097 065E7338
	v_max3_f32 v151, v58, v59, v151                            // 000000009640: D1D30097 065E773A
	ds_write_b64 v220, v[150:151]                              // 000000009648: D89A0000 000096DC
	v_pk_mul_f32 v[108:109], v[142:143], v[108:109]            // 000000009650: D3B1406C 1802D98E
	v_pk_mul_f32 v[110:111], v[142:143], v[110:111]            // 000000009658: D3B1406E 1802DD8E
	v_pk_mul_f32 v[112:113], v[142:143], v[112:113]            // 000000009660: D3B14070 1802E18E
	v_pk_mul_f32 v[114:115], v[142:143], v[114:115]            // 000000009668: D3B14072 1802E58E
	v_pk_mul_f32 v[116:117], v[144:145], v[116:117]            // 000000009670: D3B14074 1802E990
	v_pk_mul_f32 v[118:119], v[144:145], v[118:119]            // 000000009678: D3B14076 1802ED90
	v_pk_mul_f32 v[120:121], v[144:145], v[120:121]            // 000000009680: D3B14078 1802F190
	v_pk_mul_f32 v[122:123], v[144:145], v[122:123]            // 000000009688: D3B1407A 1802F590
	s_waitcnt lgkmcnt(0)                                       // 000000009690: BF8CC07F
	s_barrier                                                  // 000000009694: BF8A0000
	v_pk_mul_f32 v[92:93], v[132:133], v[92:93]                // 000000009698: D3B1405C 1802B984
	v_pk_mul_f32 v[94:95], v[132:133], v[94:95]                // 0000000096A0: D3B1405E 1802BD84
	v_pk_mul_f32 v[96:97], v[132:133], v[96:97]                // 0000000096A8: D3B14060 1802C184
	v_pk_mul_f32 v[98:99], v[132:133], v[98:99]                // 0000000096B0: D3B14062 1802C584
	v_pk_mul_f32 v[100:101], v[134:135], v[100:101]            // 0000000096B8: D3B14064 1802C986
	v_pk_mul_f32 v[102:103], v[134:135], v[102:103]            // 0000000096C0: D3B14066 1802CD86
	v_pk_mul_f32 v[104:105], v[134:135], v[104:105]            // 0000000096C8: D3B14068 1802D186
	v_pk_mul_f32 v[106:107], v[134:135], v[106:107]            // 0000000096D0: D3B1406A 1802D586
	ds_read_b64 v[154:155], v221                               // 0000000096D8: D8EC0000 9A0000DD
	ds_read_b64 v[156:157], v221 offset:128                    // 0000000096E0: D8EC0080 9C0000DD
	ds_read_b64 v[158:159], v221 offset:256                    // 0000000096E8: D8EC0100 9E0000DD
	ds_read_b64 v[160:161], v221 offset:384                    // 0000000096F0: D8EC0180 A00000DD
	ds_read_b64 v[162:163], v221 offset:512                    // 0000000096F8: D8EC0200 A20000DD
	ds_read_b64 v[164:165], v221 offset:640                    // 000000009700: D8EC0280 A40000DD
	ds_read_b64 v[166:167], v221 offset:768                    // 000000009708: D8EC0300 A60000DD
	ds_read_b64 v[168:169], v221 offset:896                    // 000000009710: D8EC0380 A80000DD
	ds_read_b64 v[170:171], v221 offset:1024                   // 000000009718: D8EC0400 AA0000DD
	ds_read_b64 v[172:173], v221 offset:1152                   // 000000009720: D8EC0480 AC0000DD
	ds_read_b64 v[174:175], v221 offset:1280                   // 000000009728: D8EC0500 AE0000DD
	ds_read_b64 v[176:177], v221 offset:1408                   // 000000009730: D8EC0580 B00000DD
	ds_read_b64 v[178:179], v221 offset:1536                   // 000000009738: D8EC0600 B20000DD
	ds_read_b64 v[180:181], v221 offset:1664                   // 000000009740: D8EC0680 B40000DD
	ds_read_b64 v[182:183], v221 offset:1792                   // 000000009748: D8EC0700 B60000DD
	ds_read_b64 v[184:185], v221 offset:1920                   // 000000009750: D8EC0780 B80000DD
	s_waitcnt lgkmcnt(0)                                       // 000000009758: BF8CC07F
	v_max3_f32 v150, v154, v156, v150                          // 00000000975C: D1D30096 065B399A
	v_max3_f32 v151, v155, v157, v151                          // 000000009764: D1D30097 065F3B9B
	v_max3_f32 v150, v158, v160, v150                          // 00000000976C: D1D30096 065B419E
	v_max3_f32 v151, v159, v161, v151                          // 000000009774: D1D30097 065F439F
	v_max3_f32 v150, v162, v164, v150                          // 00000000977C: D1D30096 065B49A2
	v_max3_f32 v151, v163, v165, v151                          // 000000009784: D1D30097 065F4BA3
	v_max3_f32 v150, v166, v168, v150                          // 00000000978C: D1D30096 065B51A6
	v_max3_f32 v151, v167, v169, v151                          // 000000009794: D1D30097 065F53A7
	v_max3_f32 v150, v170, v172, v150                          // 00000000979C: D1D30096 065B59AA
	v_max3_f32 v151, v171, v173, v151                          // 0000000097A4: D1D30097 065F5BAB
	v_max3_f32 v150, v174, v176, v150                          // 0000000097AC: D1D30096 065B61AE
	v_max3_f32 v151, v175, v177, v151                          // 0000000097B4: D1D30097 065F63AF
	v_max3_f32 v150, v178, v180, v150                          // 0000000097BC: D1D30096 065B69B2
	v_max3_f32 v151, v179, v181, v151                          // 0000000097C4: D1D30097 065F6BB3
	v_max3_f32 v150, v182, v184, v150                          // 0000000097CC: D1D30096 065B71B6
	v_max3_f32 v151, v183, v185, v151                          // 0000000097D4: D1D30097 065F73B7
	v_max_f32_e32 v140, v150, v138                             // 0000000097DC: 17191596
	v_mul_f32_e64 v186, -s46, v140                             // 0000000097E0: D10500BA 2003182E
	v_mov_b32_e32 v187, v186                                   // 0000000097E8: 7F7603BA
	v_pk_fma_f32 v[28:29], v[28:29], s[46:47], v[186:187]      // 0000000097EC: D3B0401C 1EE85D1C
	v_pk_fma_f32 v[30:31], v[30:31], s[46:47], v[186:187]      // 0000000097F4: D3B0401E 1EE85D1E
	v_exp_f32_e32 v28, v28                                     // 0000000097FC: 7E38411C
	v_exp_f32_e32 v29, v29                                     // 000000009800: 7E3A411D
	v_exp_f32_e32 v30, v30                                     // 000000009804: 7E3C411E
	v_exp_f32_e32 v31, v31                                     // 000000009808: 7E3E411F
	v_pk_fma_f32 v[32:33], v[32:33], s[46:47], v[186:187]      // 00000000980C: D3B04020 1EE85D20
	v_pk_fma_f32 v[34:35], v[34:35], s[46:47], v[186:187]      // 000000009814: D3B04022 1EE85D22
	v_exp_f32_e32 v32, v32                                     // 00000000981C: 7E404120
	v_exp_f32_e32 v33, v33                                     // 000000009820: 7E424121
	v_exp_f32_e32 v34, v34                                     // 000000009824: 7E444122
	v_exp_f32_e32 v35, v35                                     // 000000009828: 7E464123
	v_pk_fma_f32 v[36:37], v[36:37], s[46:47], v[186:187]      // 00000000982C: D3B04024 1EE85D24
	v_pk_fma_f32 v[38:39], v[38:39], s[46:47], v[186:187]      // 000000009834: D3B04026 1EE85D26
	v_exp_f32_e32 v36, v36                                     // 00000000983C: 7E484124
	v_exp_f32_e32 v37, v37                                     // 000000009840: 7E4A4125
	v_exp_f32_e32 v38, v38                                     // 000000009844: 7E4C4126
	v_exp_f32_e32 v39, v39                                     // 000000009848: 7E4E4127
	v_pk_fma_f32 v[40:41], v[40:41], s[46:47], v[186:187]      // 00000000984C: D3B04028 1EE85D28
	v_pk_fma_f32 v[42:43], v[42:43], s[46:47], v[186:187]      // 000000009854: D3B0402A 1EE85D2A
	v_exp_f32_e32 v40, v40                                     // 00000000985C: 7E504128
	v_exp_f32_e32 v41, v41                                     // 000000009860: 7E524129
	v_exp_f32_e32 v42, v42                                     // 000000009864: 7E54412A
	v_exp_f32_e32 v43, v43                                     // 000000009868: 7E56412B
	v_max_f32_e32 v141, v151, v139                             // 00000000986C: 171B1797
	v_mul_f32_e64 v186, -s46, v141                             // 000000009870: D10500BA 20031A2E
	v_mov_b32_e32 v187, v186                                   // 000000009878: 7F7603BA
	v_pk_fma_f32 v[44:45], v[44:45], s[46:47], v[186:187]      // 00000000987C: D3B0402C 1EE85D2C
	v_pk_fma_f32 v[46:47], v[46:47], s[46:47], v[186:187]      // 000000009884: D3B0402E 1EE85D2E
	v_exp_f32_e32 v44, v44                                     // 00000000988C: 7E58412C
	v_exp_f32_e32 v45, v45                                     // 000000009890: 7E5A412D
	v_exp_f32_e32 v46, v46                                     // 000000009894: 7E5C412E
	v_exp_f32_e32 v47, v47                                     // 000000009898: 7E5E412F
	v_pk_fma_f32 v[48:49], v[48:49], s[46:47], v[186:187]      // 00000000989C: D3B04030 1EE85D30
	v_pk_fma_f32 v[50:51], v[50:51], s[46:47], v[186:187]      // 0000000098A4: D3B04032 1EE85D32
	v_exp_f32_e32 v48, v48                                     // 0000000098AC: 7E604130
	v_exp_f32_e32 v49, v49                                     // 0000000098B0: 7E624131
	v_exp_f32_e32 v50, v50                                     // 0000000098B4: 7E644132
	v_exp_f32_e32 v51, v51                                     // 0000000098B8: 7E664133
	v_pk_fma_f32 v[52:53], v[52:53], s[46:47], v[186:187]      // 0000000098BC: D3B04034 1EE85D34
	v_pk_fma_f32 v[54:55], v[54:55], s[46:47], v[186:187]      // 0000000098C4: D3B04036 1EE85D36
	v_exp_f32_e32 v52, v52                                     // 0000000098CC: 7E684134
	v_exp_f32_e32 v53, v53                                     // 0000000098D0: 7E6A4135
	v_exp_f32_e32 v54, v54                                     // 0000000098D4: 7E6C4136
	v_exp_f32_e32 v55, v55                                     // 0000000098D8: 7E6E4137
	v_pk_fma_f32 v[56:57], v[56:57], s[46:47], v[186:187]      // 0000000098DC: D3B04038 1EE85D38
	v_pk_fma_f32 v[58:59], v[58:59], s[46:47], v[186:187]      // 0000000098E4: D3B0403A 1EE85D3A
	v_exp_f32_e32 v56, v56                                     // 0000000098EC: 7E704138
	v_exp_f32_e32 v57, v57                                     // 0000000098F0: 7E724139
	v_exp_f32_e32 v58, v58                                     // 0000000098F4: 7E74413A
	v_exp_f32_e32 v59, v59                                     // 0000000098F8: 7E76413B
	v_mul_f32_dpp v60, v131, v28 row_newbcast:0 row_mask:0xf bank_mask:0xf// 0000000098FC: 0A7838FA FF015083
	v_mul_f32_dpp v61, v131, v29 row_newbcast:1 row_mask:0xf bank_mask:0xf// 000000009904: 0A7A3AFA FF015183
	v_mul_f32_dpp v62, v131, v30 row_newbcast:2 row_mask:0xf bank_mask:0xf// 00000000990C: 0A7C3CFA FF015283
	v_mul_f32_dpp v63, v131, v31 row_newbcast:3 row_mask:0xf bank_mask:0xf// 000000009914: 0A7E3EFA FF015383
	v_mul_f32_dpp v64, v131, v32 row_newbcast:4 row_mask:0xf bank_mask:0xf// 00000000991C: 0A8040FA FF015483
	v_mul_f32_dpp v65, v131, v33 row_newbcast:5 row_mask:0xf bank_mask:0xf// 000000009924: 0A8242FA FF015583
	v_mul_f32_dpp v66, v131, v34 row_newbcast:6 row_mask:0xf bank_mask:0xf// 00000000992C: 0A8444FA FF015683
	v_mul_f32_dpp v67, v131, v35 row_newbcast:7 row_mask:0xf bank_mask:0xf// 000000009934: 0A8646FA FF015783
	v_mul_f32_dpp v68, v131, v36 row_newbcast:8 row_mask:0xf bank_mask:0xf// 00000000993C: 0A8848FA FF015883
	v_mul_f32_dpp v69, v131, v37 row_newbcast:9 row_mask:0xf bank_mask:0xf// 000000009944: 0A8A4AFA FF015983
	v_mul_f32_dpp v70, v131, v38 row_newbcast:10 row_mask:0xf bank_mask:0xf// 00000000994C: 0A8C4CFA FF015A83
	v_mul_f32_dpp v71, v131, v39 row_newbcast:11 row_mask:0xf bank_mask:0xf// 000000009954: 0A8E4EFA FF015B83
	v_mul_f32_dpp v72, v131, v40 row_newbcast:12 row_mask:0xf bank_mask:0xf// 00000000995C: 0A9050FA FF015C83
	v_mul_f32_dpp v73, v131, v41 row_newbcast:13 row_mask:0xf bank_mask:0xf// 000000009964: 0A9252FA FF015D83
	v_mul_f32_dpp v74, v131, v42 row_newbcast:14 row_mask:0xf bank_mask:0xf// 00000000996C: 0A9454FA FF015E83
	v_mul_f32_dpp v75, v131, v43 row_newbcast:15 row_mask:0xf bank_mask:0xf// 000000009974: 0A9656FA FF015F83
	v_mul_f32_dpp v76, v131, v44 row_newbcast:0 row_mask:0xf bank_mask:0xf// 00000000997C: 0A9858FA FF015083
	v_mul_f32_dpp v77, v131, v45 row_newbcast:1 row_mask:0xf bank_mask:0xf// 000000009984: 0A9A5AFA FF015183
	v_mul_f32_dpp v78, v131, v46 row_newbcast:2 row_mask:0xf bank_mask:0xf// 00000000998C: 0A9C5CFA FF015283
	v_mul_f32_dpp v79, v131, v47 row_newbcast:3 row_mask:0xf bank_mask:0xf// 000000009994: 0A9E5EFA FF015383
	v_mul_f32_dpp v80, v131, v48 row_newbcast:4 row_mask:0xf bank_mask:0xf// 00000000999C: 0AA060FA FF015483
	v_mul_f32_dpp v81, v131, v49 row_newbcast:5 row_mask:0xf bank_mask:0xf// 0000000099A4: 0AA262FA FF015583
	v_mul_f32_dpp v82, v131, v50 row_newbcast:6 row_mask:0xf bank_mask:0xf// 0000000099AC: 0AA464FA FF015683
	v_mul_f32_dpp v83, v131, v51 row_newbcast:7 row_mask:0xf bank_mask:0xf// 0000000099B4: 0AA666FA FF015783
	v_mul_f32_dpp v84, v131, v52 row_newbcast:8 row_mask:0xf bank_mask:0xf// 0000000099BC: 0AA868FA FF015883
	v_mul_f32_dpp v85, v131, v53 row_newbcast:9 row_mask:0xf bank_mask:0xf// 0000000099C4: 0AAA6AFA FF015983
	v_mul_f32_dpp v86, v131, v54 row_newbcast:10 row_mask:0xf bank_mask:0xf// 0000000099CC: 0AAC6CFA FF015A83
	v_mul_f32_dpp v87, v131, v55 row_newbcast:11 row_mask:0xf bank_mask:0xf// 0000000099D4: 0AAE6EFA FF015B83
	v_mul_f32_dpp v88, v131, v56 row_newbcast:12 row_mask:0xf bank_mask:0xf// 0000000099DC: 0AB070FA FF015C83
	v_mul_f32_dpp v89, v131, v57 row_newbcast:13 row_mask:0xf bank_mask:0xf// 0000000099E4: 0AB272FA FF015D83
	v_mul_f32_dpp v90, v131, v58 row_newbcast:14 row_mask:0xf bank_mask:0xf// 0000000099EC: 0AB474FA FF015E83
	v_mul_f32_dpp v91, v131, v59 row_newbcast:15 row_mask:0xf bank_mask:0xf// 0000000099F4: 0AB676FA FF015F83
	v_mov_b32_e32 v150, 0x358637bd                             // 0000000099FC: 7F2C02FF 358637BD
	v_max3_f32 v150, |v60|, |v61|, v150                        // 000000009A04: D1D30396 065A7B3C
	v_max3_f32 v150, |v62|, |v63|, v150                        // 000000009A0C: D1D30396 065A7F3E
	v_max3_f32 v150, |v64|, |v65|, v150                        // 000000009A14: D1D30396 065A8340
	v_max3_f32 v150, |v66|, |v67|, v150                        // 000000009A1C: D1D30396 065A8742
	v_max3_f32 v150, |v68|, |v69|, v150                        // 000000009A24: D1D30396 065A8B44
	v_max3_f32 v150, |v70|, |v71|, v150                        // 000000009A2C: D1D30396 065A8F46
	v_max3_f32 v150, |v72|, |v73|, v150                        // 000000009A34: D1D30396 065A9348
	v_max3_f32 v150, |v74|, |v75|, v150                        // 000000009A3C: D1D30396 065A974A
	v_mov_b32_e32 v151, 0x358637bd                             // 000000009A44: 7F2E02FF 358637BD
	v_max3_f32 v151, |v76|, |v77|, v151                        // 000000009A4C: D1D30397 065E9B4C
	v_max3_f32 v151, |v78|, |v79|, v151                        // 000000009A54: D1D30397 065E9F4E
	v_max3_f32 v151, |v80|, |v81|, v151                        // 000000009A5C: D1D30397 065EA350
	v_max3_f32 v151, |v82|, |v83|, v151                        // 000000009A64: D1D30397 065EA752
	v_max3_f32 v151, |v84|, |v85|, v151                        // 000000009A6C: D1D30397 065EAB54
	v_max3_f32 v151, |v86|, |v87|, v151                        // 000000009A74: D1D30397 065EAF56
	v_max3_f32 v151, |v88|, |v89|, v151                        // 000000009A7C: D1D30397 065EB358
	v_max3_f32 v151, |v90|, |v91|, v151                        // 000000009A84: D1D30397 065EB75A
	ds_write_b64 v220, v[150:151] offset:2304                  // 000000009A8C: D89A0900 000096DC
	buffer_load_dword v128, v208, s[20:23], 0 offen            // 000000009A94: E0501000 800580D0
	v_sub_f32_e32 v142, v138, v140                             // 000000009A9C: 051D198A
	v_cmp_eq_u32_e64 s[98:99], v197, v138                      // 000000009AA0: D0CA0062 000315C5
	v_cndmask_b32_e64 v142, v142, 0, s[98:99]                  // 000000009AA8: D100008E 0189018E
	v_mov_b32_e32 v138, v140                                   // 000000009AB0: 7F14038C
	v_mul_f32_e32 v142, s46, v142                              // 000000009AB4: 0B1D1C2E
	v_exp_f32_e32 v142, v142                                   // 000000009AB8: 7F1C418E
	v_sub_f32_e32 v144, v139, v141                             // 000000009ABC: 05211B8B
	v_cmp_eq_u32_e64 s[98:99], v197, v139                      // 000000009AC0: D0CA0062 000317C5
	v_cndmask_b32_e64 v144, v144, 0, s[98:99]                  // 000000009AC8: D1000090 01890190
	v_mov_b32_e32 v139, v141                                   // 000000009AD0: 7F16038D
	v_mul_f32_e32 v144, s46, v144                              // 000000009AD4: 0B21202E
	v_exp_f32_e32 v144, v144                                   // 000000009AD8: 7F204190
	v_mov_b32_e32 v143, v142                                   // 000000009ADC: 7F1E038E
	v_mov_b32_e32 v145, v144                                   // 000000009AE0: 7F220390
	buffer_load_dword v130, v209, s[24:27], 0 offen            // 000000009AE4: E0501000 800682D1
	s_waitcnt lgkmcnt(0)                                       // 000000009AEC: BF8CC07F
	s_barrier                                                  // 000000009AF0: BF8A0000
	v_mul_f32_e32 v146, v142, v146                             // 000000009AF4: 0B25258E
	v_mov_b32_e32 v147, 0                                      // 000000009AF8: 7F260280
	v_pk_add_f32 v[146:147], v[28:29], v[146:147]              // 000000009AFC: D3B24092 1803251C
	v_pk_add_f32 v[146:147], v[30:31], v[146:147]              // 000000009B04: D3B24092 1803251E
	v_pk_add_f32 v[146:147], v[32:33], v[146:147]              // 000000009B0C: D3B24092 18032520
	v_pk_add_f32 v[146:147], v[34:35], v[146:147]              // 000000009B14: D3B24092 18032522
	v_pk_add_f32 v[146:147], v[36:37], v[146:147]              // 000000009B1C: D3B24092 18032524
	v_pk_add_f32 v[146:147], v[38:39], v[146:147]              // 000000009B24: D3B24092 18032526
	v_pk_add_f32 v[146:147], v[40:41], v[146:147]              // 000000009B2C: D3B24092 18032528
	v_pk_add_f32 v[146:147], v[42:43], v[146:147]              // 000000009B34: D3B24092 1803252A
	v_add_f32_e32 v146, v147, v146                             // 000000009B3C: 03252593
	v_mul_f32_e32 v148, v144, v148                             // 000000009B40: 0B292990
	v_mov_b32_e32 v149, 0                                      // 000000009B44: 7F2A0280
	v_pk_add_f32 v[148:149], v[44:45], v[148:149]              // 000000009B48: D3B24094 1803292C
	v_pk_add_f32 v[148:149], v[46:47], v[148:149]              // 000000009B50: D3B24094 1803292E
	v_pk_add_f32 v[148:149], v[48:49], v[148:149]              // 000000009B58: D3B24094 18032930
	v_pk_add_f32 v[148:149], v[50:51], v[148:149]              // 000000009B60: D3B24094 18032932
	v_pk_add_f32 v[148:149], v[52:53], v[148:149]              // 000000009B68: D3B24094 18032934
	v_pk_add_f32 v[148:149], v[54:55], v[148:149]              // 000000009B70: D3B24094 18032936
	v_pk_add_f32 v[148:149], v[56:57], v[148:149]              // 000000009B78: D3B24094 18032938
	v_pk_add_f32 v[148:149], v[58:59], v[148:149]              // 000000009B80: D3B24094 1803293A
	v_add_f32_e32 v148, v149, v148                             // 000000009B88: 03292995
	ds_read_b64 v[154:155], v221 offset:2304                   // 000000009B8C: D8EC0900 9A0000DD
	ds_read_b64 v[156:157], v221 offset:2432                   // 000000009B94: D8EC0980 9C0000DD
	ds_read_b64 v[158:159], v221 offset:2560                   // 000000009B9C: D8EC0A00 9E0000DD
	ds_read_b64 v[160:161], v221 offset:2688                   // 000000009BA4: D8EC0A80 A00000DD
	ds_read_b64 v[162:163], v221 offset:2816                   // 000000009BAC: D8EC0B00 A20000DD
	ds_read_b64 v[164:165], v221 offset:2944                   // 000000009BB4: D8EC0B80 A40000DD
	ds_read_b64 v[166:167], v221 offset:3072                   // 000000009BBC: D8EC0C00 A60000DD
	ds_read_b64 v[168:169], v221 offset:3200                   // 000000009BC4: D8EC0C80 A80000DD
	ds_read_b64 v[170:171], v221 offset:3328                   // 000000009BCC: D8EC0D00 AA0000DD
	ds_read_b64 v[172:173], v221 offset:3456                   // 000000009BD4: D8EC0D80 AC0000DD
	ds_read_b64 v[174:175], v221 offset:3584                   // 000000009BDC: D8EC0E00 AE0000DD
	ds_read_b64 v[176:177], v221 offset:3712                   // 000000009BE4: D8EC0E80 B00000DD
	ds_read_b64 v[178:179], v221 offset:3840                   // 000000009BEC: D8EC0F00 B20000DD
	ds_read_b64 v[180:181], v221 offset:3968                   // 000000009BF4: D8EC0F80 B40000DD
	ds_read_b64 v[182:183], v221 offset:4096                   // 000000009BFC: D8EC1000 B60000DD
	ds_read_b64 v[184:185], v221 offset:4224                   // 000000009C04: D8EC1080 B80000DD
	s_waitcnt lgkmcnt(0)                                       // 000000009C0C: BF8CC07F
	v_max3_f32 v150, v154, v156, v150                          // 000000009C10: D1D30096 065B399A
	v_max3_f32 v151, v155, v157, v151                          // 000000009C18: D1D30097 065F3B9B
	v_max3_f32 v150, v158, v160, v150                          // 000000009C20: D1D30096 065B419E
	v_max3_f32 v151, v159, v161, v151                          // 000000009C28: D1D30097 065F439F
	v_max3_f32 v150, v162, v164, v150                          // 000000009C30: D1D30096 065B49A2
	v_max3_f32 v151, v163, v165, v151                          // 000000009C38: D1D30097 065F4BA3
	v_max3_f32 v150, v166, v168, v150                          // 000000009C40: D1D30096 065B51A6
	v_max3_f32 v151, v167, v169, v151                          // 000000009C48: D1D30097 065F53A7
	v_max3_f32 v150, v170, v172, v150                          // 000000009C50: D1D30096 065B59AA
	v_max3_f32 v151, v171, v173, v151                          // 000000009C58: D1D30097 065F5BAB
	v_max3_f32 v150, v174, v176, v150                          // 000000009C60: D1D30096 065B61AE
	v_max3_f32 v151, v175, v177, v151                          // 000000009C68: D1D30097 065F63AF
	v_max3_f32 v150, v178, v180, v150                          // 000000009C70: D1D30096 065B69B2
	v_max3_f32 v151, v179, v181, v151                          // 000000009C78: D1D30097 065F6BB3
	v_max3_f32 v150, v182, v184, v150                          // 000000009C80: D1D30096 065B71B6
	v_max3_f32 v151, v183, v185, v151                          // 000000009C88: D1D30097 065F73B7
	v_rcp_f32_e32 v150, v150                                   // 000000009C90: 7F2C4596
	v_rcp_f32_e32 v151, v151                                   // 000000009C94: 7F2E4597
	v_mul_f32_e32 v150, 0x43700000, v150                       // 000000009C98: 0B2D2CFF 43700000
	v_mul_f32_e32 v151, 0x43700000, v151                       // 000000009CA0: 0B2F2EFF 43700000
	v_mov_b32_e32 v152, v151                                   // 000000009CA8: 7F300397
	v_mov_b32_e32 v153, v151                                   // 000000009CAC: 7F320397
	v_mov_b32_e32 v151, v150                                   // 000000009CB0: 7F2E0396
	v_pk_mul_f32 v[28:29], v[150:151], v[60:61]                // 000000009CB4: D3B1401C 18027996
	v_pk_mul_f32 v[30:31], v[150:151], v[62:63]                // 000000009CBC: D3B1401E 18027D96
	v_pk_mul_f32 v[32:33], v[150:151], v[64:65]                // 000000009CC4: D3B14020 18028196
	v_pk_mul_f32 v[34:35], v[150:151], v[66:67]                // 000000009CCC: D3B14022 18028596
	v_pk_mul_f32 v[36:37], v[150:151], v[68:69]                // 000000009CD4: D3B14024 18028996
	v_pk_mul_f32 v[38:39], v[150:151], v[70:71]                // 000000009CDC: D3B14026 18028D96
	v_pk_mul_f32 v[40:41], v[150:151], v[72:73]                // 000000009CE4: D3B14028 18029196
	v_pk_mul_f32 v[42:43], v[150:151], v[74:75]                // 000000009CEC: D3B1402A 18029596
	v_pk_mul_f32 v[44:45], v[152:153], v[76:77]                // 000000009CF4: D3B1402C 18029998
	v_pk_mul_f32 v[46:47], v[152:153], v[78:79]                // 000000009CFC: D3B1402E 18029D98
	v_pk_mul_f32 v[48:49], v[152:153], v[80:81]                // 000000009D04: D3B14030 1802A198
	v_pk_mul_f32 v[50:51], v[152:153], v[82:83]                // 000000009D0C: D3B14032 1802A598
	v_pk_mul_f32 v[52:53], v[152:153], v[84:85]                // 000000009D14: D3B14034 1802A998
	v_pk_mul_f32 v[54:55], v[152:153], v[86:87]                // 000000009D1C: D3B14036 1802AD98
	v_pk_mul_f32 v[56:57], v[152:153], v[88:89]                // 000000009D24: D3B14038 1802B198
	v_pk_mul_f32 v[58:59], v[152:153], v[90:91]                // 000000009D2C: D3B1403A 1802B598
	v_cvt_pk_fp8_f32 v28, v28, v29                             // 000000009D34: D2A2001C 00023B1C
	v_cvt_pk_fp8_f32 v28, v30, v31 op_sel:[0,0,1]              // 000000009D3C: D2A2401C 00023F1E
	v_cvt_pk_fp8_f32 v29, v32, v33                             // 000000009D44: D2A2001D 00024320
	v_cvt_pk_fp8_f32 v29, v34, v35 op_sel:[0,0,1]              // 000000009D4C: D2A2401D 00024722
	v_cvt_pk_fp8_f32 v30, v36, v37                             // 000000009D54: D2A2001E 00024B24
	v_cvt_pk_fp8_f32 v30, v38, v39 op_sel:[0,0,1]              // 000000009D5C: D2A2401E 00024F26
	v_cvt_pk_fp8_f32 v31, v40, v41                             // 000000009D64: D2A2001F 00025328
	v_cvt_pk_fp8_f32 v31, v42, v43 op_sel:[0,0,1]              // 000000009D6C: D2A2401F 0002572A
	v_cvt_pk_fp8_f32 v32, v44, v45                             // 000000009D74: D2A20020 00025B2C
	v_cvt_pk_fp8_f32 v32, v46, v47 op_sel:[0,0,1]              // 000000009D7C: D2A24020 00025F2E
	v_cvt_pk_fp8_f32 v33, v48, v49                             // 000000009D84: D2A20021 00026330
	v_cvt_pk_fp8_f32 v33, v50, v51 op_sel:[0,0,1]              // 000000009D8C: D2A24021 00026732
	v_cvt_pk_fp8_f32 v34, v52, v53                             // 000000009D94: D2A20022 00026B34
	v_cvt_pk_fp8_f32 v34, v54, v55 op_sel:[0,0,1]              // 000000009D9C: D2A24022 00026F36
	v_cvt_pk_fp8_f32 v35, v56, v57                             // 000000009DA4: D2A20023 00027338
	v_cvt_pk_fp8_f32 v35, v58, v59 op_sel:[0,0,1]              // 000000009DAC: D2A24023 0002773A
	ds_write_b32 v222, v28 offset:4608                         // 000000009DB4: D81A1200 00001CDE
	ds_write_b32 v222, v29 offset:5632                         // 000000009DBC: D81A1600 00001DDE
	ds_write_b32 v222, v30 offset:6656                         // 000000009DC4: D81A1A00 00001EDE
	ds_write_b32 v222, v31 offset:7680                         // 000000009DCC: D81A1E00 00001FDE
	ds_write_b32 v222, v32 offset:8704                         // 000000009DD4: D81A2200 000020DE
	ds_write_b32 v222, v33 offset:9728                         // 000000009DDC: D81A2600 000021DE
	ds_write_b32 v222, v34 offset:10752                        // 000000009DE4: D81A2A00 000022DE
	ds_write_b32 v222, v35 offset:11776                        // 000000009DEC: D81A2E00 000023DE
	v_rcp_f32_e32 v132, v150                                   // 000000009DF4: 7F084596
	v_rcp_f32_e32 v134, v152                                   // 000000009DF8: 7F0C4598
	v_mov_b32_e32 v133, v132                                   // 000000009DFC: 7F0A0384
	v_mov_b32_e32 v135, v134                                   // 000000009E00: 7F0E0386
	v_pk_add_f32 v[108:109], v[108:109], v[92:93]              // 000000009E04: D3B2406C 1802B96C
	v_pk_add_f32 v[110:111], v[110:111], v[94:95]              // 000000009E0C: D3B2406E 1802BD6E
	v_pk_add_f32 v[112:113], v[112:113], v[96:97]              // 000000009E14: D3B24070 1802C170
	v_pk_add_f32 v[114:115], v[114:115], v[98:99]              // 000000009E1C: D3B24072 1802C572
	v_pk_add_f32 v[116:117], v[116:117], v[100:101]            // 000000009E24: D3B24074 1802C974
	v_pk_add_f32 v[118:119], v[118:119], v[102:103]            // 000000009E2C: D3B24076 1802CD76
	v_pk_add_f32 v[120:121], v[120:121], v[104:105]            // 000000009E34: D3B24078 1802D178
	v_pk_add_f32 v[122:123], v[122:123], v[106:107]            // 000000009E3C: D3B2407A 1802D57A
	s_waitcnt lgkmcnt(0)                                       // 000000009E44: BF8CC07F
	s_barrier                                                  // 000000009E48: BF8A0000
	ds_read_b128 v[28:31], v223 offset:4608                    // 000000009E4C: D9FE1200 1C0000DF
	ds_read_b128 v[32:35], v223 offset:5632                    // 000000009E54: D9FE1600 200000DF
	ds_read_b128 v[36:39], v223 offset:6656                    // 000000009E5C: D9FE1A00 240000DF
	ds_read_b128 v[40:43], v223 offset:7680                    // 000000009E64: D9FE1E00 280000DF
	ds_read_b128 v[44:47], v223 offset:8704                    // 000000009E6C: D9FE2200 2C0000DF
	ds_read_b128 v[48:51], v223 offset:9728                    // 000000009E74: D9FE2600 300000DF
	ds_read_b128 v[52:55], v223 offset:10752                   // 000000009E7C: D9FE2A00 340000DF
	ds_read_b128 v[56:59], v223 offset:11776                   // 000000009E84: D9FE2E00 380000DF
	s_waitcnt vmcnt(10)                                        // 000000009E8C: BF8C0F7A
	s_waitcnt lgkmcnt(7)                                       // 000000009E90: BF8CC77F
	v_mfma_f32_16x16x32_fp8_fp8 v[92:95], a[96:97], v[28:29], 0// 000000009E94: D3F3005C 0A023960
	v_mfma_f32_16x16x32_fp8_fp8 v[96:99], a[112:113], v[28:29], 0// 000000009E9C: D3F30060 0A023970
	v_mfma_f32_16x16x32_fp8_fp8 v[92:95], a[98:99], v[30:31], v[92:95]// 000000009EA4: D3F3005C 0D723D62
	buffer_load_dwordx4 a[64:67], v204, s[16:19], 0 offen      // 000000009EAC: E05C1000 808440CC
	v_mfma_f32_16x16x32_fp8_fp8 v[96:99], a[114:115], v[30:31], v[96:99]// 000000009EB4: D3F30060 0D823D72
	s_waitcnt lgkmcnt(6)                                       // 000000009EBC: BF8CC67F
	v_mfma_f32_16x16x32_fp8_fp8 v[92:95], a[100:101], v[32:33], v[92:95]// 000000009EC0: D3F3005C 0D724164
	v_mfma_f32_16x16x32_fp8_fp8 v[96:99], a[116:117], v[32:33], v[96:99]// 000000009EC8: D3F30060 0D824174
	v_mfma_f32_16x16x32_fp8_fp8 v[92:95], a[102:103], v[34:35], v[92:95]// 000000009ED0: D3F3005C 0D724566
	buffer_load_dwordx4 a[68:71], v205, s[16:19], 0 offen      // 000000009ED8: E05C1000 808444CD
	v_mfma_f32_16x16x32_fp8_fp8 v[96:99], a[118:119], v[34:35], v[96:99]// 000000009EE0: D3F30060 0D824576
	s_waitcnt lgkmcnt(5)                                       // 000000009EE8: BF8CC57F
	v_mfma_f32_16x16x32_fp8_fp8 v[92:95], a[104:105], v[36:37], v[92:95]// 000000009EEC: D3F3005C 0D724968
	v_mfma_f32_16x16x32_fp8_fp8 v[96:99], a[120:121], v[36:37], v[96:99]// 000000009EF4: D3F30060 0D824978
	v_mfma_f32_16x16x32_fp8_fp8 v[92:95], a[106:107], v[38:39], v[92:95]// 000000009EFC: D3F3005C 0D724D6A
	buffer_load_dwordx4 a[72:75], v206, s[16:19], 0 offen      // 000000009F04: E05C1000 808448CE
	v_mfma_f32_16x16x32_fp8_fp8 v[96:99], a[122:123], v[38:39], v[96:99]// 000000009F0C: D3F30060 0D824D7A
	s_waitcnt lgkmcnt(4)                                       // 000000009F14: BF8CC47F
	v_mfma_f32_16x16x32_fp8_fp8 v[92:95], a[108:109], v[40:41], v[92:95]// 000000009F18: D3F3005C 0D72516C
	v_mfma_f32_16x16x32_fp8_fp8 v[96:99], a[124:125], v[40:41], v[96:99]// 000000009F20: D3F30060 0D82517C
	v_mfma_f32_16x16x32_fp8_fp8 v[92:95], a[110:111], v[42:43], v[92:95]// 000000009F28: D3F3005C 0D72556E
	buffer_load_dwordx4 a[76:79], v207, s[16:19], 0 offen      // 000000009F30: E05C1000 80844CCF
	v_mfma_f32_16x16x32_fp8_fp8 v[96:99], a[126:127], v[42:43], v[96:99]// 000000009F38: D3F30060 0D82557E
	s_waitcnt lgkmcnt(3)                                       // 000000009F40: BF8CC37F
	v_mfma_f32_16x16x32_fp8_fp8 v[100:103], a[96:97], v[44:45], 0// 000000009F44: D3F30064 0A025960
	v_mfma_f32_16x16x32_fp8_fp8 v[104:107], a[112:113], v[44:45], 0// 000000009F4C: D3F30068 0A025970
	v_mfma_f32_16x16x32_fp8_fp8 v[100:103], a[98:99], v[46:47], v[100:103]// 000000009F54: D3F30064 0D925D62
	buffer_load_dwordx4 a[80:83], v204, s[16:19], 0 offen offset:1024// 000000009F5C: E05C1400 808450CC
	v_mfma_f32_16x16x32_fp8_fp8 v[104:107], a[114:115], v[46:47], v[104:107]// 000000009F64: D3F30068 0DA25D72
	s_waitcnt lgkmcnt(2)                                       // 000000009F6C: BF8CC27F
	v_mfma_f32_16x16x32_fp8_fp8 v[100:103], a[100:101], v[48:49], v[100:103]// 000000009F70: D3F30064 0D926164
	v_mfma_f32_16x16x32_fp8_fp8 v[104:107], a[116:117], v[48:49], v[104:107]// 000000009F78: D3F30068 0DA26174
	v_mfma_f32_16x16x32_fp8_fp8 v[100:103], a[102:103], v[50:51], v[100:103]// 000000009F80: D3F30064 0D926566
	buffer_load_dwordx4 a[84:87], v205, s[16:19], 0 offen offset:1024// 000000009F88: E05C1400 808454CD
	v_mfma_f32_16x16x32_fp8_fp8 v[104:107], a[118:119], v[50:51], v[104:107]// 000000009F90: D3F30068 0DA26576
	s_waitcnt lgkmcnt(1)                                       // 000000009F98: BF8CC17F
	v_mfma_f32_16x16x32_fp8_fp8 v[100:103], a[104:105], v[52:53], v[100:103]// 000000009F9C: D3F30064 0D926968
	v_mfma_f32_16x16x32_fp8_fp8 v[104:107], a[120:121], v[52:53], v[104:107]// 000000009FA4: D3F30068 0DA26978
	v_mfma_f32_16x16x32_fp8_fp8 v[100:103], a[106:107], v[54:55], v[100:103]// 000000009FAC: D3F30064 0D926D6A
	buffer_load_dwordx4 a[88:91], v206, s[16:19], 0 offen offset:1024// 000000009FB4: E05C1400 808458CE
	v_mfma_f32_16x16x32_fp8_fp8 v[104:107], a[122:123], v[54:55], v[104:107]// 000000009FBC: D3F30068 0DA26D7A
	s_waitcnt lgkmcnt(0)                                       // 000000009FC4: BF8CC07F
	v_mfma_f32_16x16x32_fp8_fp8 v[100:103], a[108:109], v[56:57], v[100:103]// 000000009FC8: D3F30064 0D92716C
	v_mfma_f32_16x16x32_fp8_fp8 v[104:107], a[124:125], v[56:57], v[104:107]// 000000009FD0: D3F30068 0DA2717C
	v_mfma_f32_16x16x32_fp8_fp8 v[100:103], a[110:111], v[58:59], v[100:103]// 000000009FD8: D3F30064 0D92756E
	buffer_load_dwordx4 a[92:95], v207, s[16:19], 0 offen offset:1024// 000000009FE0: E05C1400 80845CCF
	v_mfma_f32_16x16x32_fp8_fp8 v[104:107], a[126:127], v[58:59], v[104:107]// 000000009FE8: D3F30068 0DA2757E
	s_addk_i32 s64, 0x100                                      // 000000009FF0: B7400100
	s_branch label_10BA                                        // 000000009FF4: BF82F2BC

0000000000009ff8 <label_1DFE>:
	s_cmp_lt_i32 s64, s62                                      // 000000009FF8: BF043E40
	s_cbranch_scc0 label_3592                                  // 000000009FFC: BF841792
	s_waitcnt vmcnt(10)                                        // 00000000A000: BF8C0F7A
	v_mfma_f32_16x16x32_fp8_fp8 v[28:31], a[0:1], v[12:13], 0  // 00000000A004: D3F3001C 0A021900
	s_add_u32 s12, s86, s69                                    // 00000000A00C: 800C4556
	s_addc_u32 s13, s87, 0                                     // 00000000A010: 820D8057
	v_mfma_f32_16x16x32_fp8_fp8 v[28:31], a[2:3], v[14:15], v[28:31]// 00000000A014: D3F3001C 0C721D02
	s_add_u32 s16, s88, s70                                    // 00000000A01C: 80104658
	s_addc_u32 s17, s89, 0                                     // 00000000A020: 82118059
	v_mfma_f32_16x16x32_fp8_fp8 v[28:31], a[4:5], v[16:17], v[28:31]// 00000000A024: D3F3001C 0C722104
	buffer_load_dwordx4 a[32:35], v202, s[12:15], 0 offen      // 00000000A02C: E05C1000 808320CA
	v_mfma_f32_16x16x32_fp8_fp8 v[28:31], a[6:7], v[18:19], v[28:31]// 00000000A034: D3F3001C 0C722506
	s_add_u32 s20, s90, s71                                    // 00000000A03C: 8014475A
	s_addc_u32 s21, s91, 0                                     // 00000000A040: 8215805B
	v_mfma_f32_16x16x32_fp8_fp8 v[32:35], a[8:9], v[12:13], 0  // 00000000A044: D3F30020 0A021908
	s_add_u32 s24, s92, s71                                    // 00000000A04C: 8018475C
	s_addc_u32 s25, s93, 0                                     // 00000000A050: 8219805D
	v_mfma_f32_16x16x32_fp8_fp8 v[32:35], a[10:11], v[14:15], v[32:35]// 00000000A054: D3F30020 0C821D0A
	s_add_u32 s69, s69, 0x1000                                 // 00000000A05C: 8045FF45 00001000
	s_add_u32 s70, s70, 0x8000                                 // 00000000A064: 8046FF46 00008000
	v_mfma_f32_16x16x32_fp8_fp8 v[32:35], a[12:13], v[16:17], v[32:35]// 00000000A06C: D3F30020 0C82210C
	buffer_load_dwordx4 a[36:39], v203, s[12:15], 0 offen      // 00000000A074: E05C1000 808324CB
	v_mfma_f32_16x16x32_fp8_fp8 v[32:35], a[14:15], v[18:19], v[32:35]// 00000000A07C: D3F30020 0C82250E
	s_add_u32 s71, s71, 0x400                                  // 00000000A084: 8047FF47 00000400
	v_mfma_f32_16x16x32_fp8_fp8 v[36:39], a[16:17], v[12:13], 0// 00000000A08C: D3F30024 0A021910
	v_mfma_f32_16x16x32_fp8_fp8 v[36:39], a[18:19], v[14:15], v[36:39]// 00000000A094: D3F30024 0C921D12
	v_mfma_f32_16x16x32_fp8_fp8 v[36:39], a[20:21], v[16:17], v[36:39]// 00000000A09C: D3F30024 0C922114
	buffer_load_dwordx4 a[40:43], v202, s[12:15], 0 offen offset:1024// 00000000A0A4: E05C1400 808328CA
	v_mfma_f32_16x16x32_fp8_fp8 v[36:39], a[22:23], v[18:19], v[36:39]// 00000000A0AC: D3F30024 0C922516
	v_mfma_f32_16x16x32_fp8_fp8 v[40:43], a[24:25], v[12:13], 0// 00000000A0B4: D3F30028 0A021918
	v_mfma_f32_16x16x32_fp8_fp8 v[40:43], a[26:27], v[14:15], v[40:43]// 00000000A0BC: D3F30028 0CA21D1A
	v_mfma_f32_16x16x32_fp8_fp8 v[40:43], a[28:29], v[16:17], v[40:43]// 00000000A0C4: D3F30028 0CA2211C
	buffer_load_dwordx4 a[44:47], v203, s[12:15], 0 offen offset:1024// 00000000A0CC: E05C1400 80832CCB
	v_mfma_f32_16x16x32_fp8_fp8 v[40:43], a[30:31], v[18:19], v[40:43]// 00000000A0D4: D3F30028 0CA2251E
	v_mfma_f32_16x16x32_fp8_fp8 v[44:47], a[0:1], v[20:21], 0  // 00000000A0DC: D3F3002C 0A022900
	v_mfma_f32_16x16x32_fp8_fp8 v[44:47], a[2:3], v[22:23], v[44:47]// 00000000A0E4: D3F3002C 0CB22D02
	v_mfma_f32_16x16x32_fp8_fp8 v[44:47], a[4:5], v[24:25], v[44:47]// 00000000A0EC: D3F3002C 0CB23104
	buffer_load_dwordx4 a[48:51], v202, s[12:15], 0 offen offset:2048// 00000000A0F4: E05C1800 808330CA
	v_mfma_f32_16x16x32_fp8_fp8 v[44:47], a[6:7], v[26:27], v[44:47]// 00000000A0FC: D3F3002C 0CB23506
	v_mfma_f32_16x16x32_fp8_fp8 v[48:51], a[8:9], v[20:21], 0  // 00000000A104: D3F30030 0A022908
	v_mfma_f32_16x16x32_fp8_fp8 v[48:51], a[10:11], v[22:23], v[48:51]// 00000000A10C: D3F30030 0CC22D0A
	v_mfma_f32_16x16x32_fp8_fp8 v[48:51], a[12:13], v[24:25], v[48:51]// 00000000A114: D3F30030 0CC2310C
	buffer_load_dwordx4 a[52:55], v203, s[12:15], 0 offen offset:2048// 00000000A11C: E05C1800 808334CB
	v_mfma_f32_16x16x32_fp8_fp8 v[48:51], a[14:15], v[26:27], v[48:51]// 00000000A124: D3F30030 0CC2350E
	v_mfma_f32_16x16x32_fp8_fp8 v[52:55], a[16:17], v[20:21], 0// 00000000A12C: D3F30034 0A022910
	v_mfma_f32_16x16x32_fp8_fp8 v[52:55], a[18:19], v[22:23], v[52:55]// 00000000A134: D3F30034 0CD22D12
	v_mfma_f32_16x16x32_fp8_fp8 v[52:55], a[20:21], v[24:25], v[52:55]// 00000000A13C: D3F30034 0CD23114
	buffer_load_dwordx4 a[56:59], v202, s[12:15], 0 offen offset:3072// 00000000A144: E05C1C00 808338CA
	v_mfma_f32_16x16x32_fp8_fp8 v[52:55], a[22:23], v[26:27], v[52:55]// 00000000A14C: D3F30034 0CD23516
	v_mfma_f32_16x16x32_fp8_fp8 v[56:59], a[24:25], v[20:21], 0// 00000000A154: D3F30038 0A022918
	v_mfma_f32_16x16x32_fp8_fp8 v[56:59], a[26:27], v[22:23], v[56:59]// 00000000A15C: D3F30038 0CE22D1A
	v_mfma_f32_16x16x32_fp8_fp8 v[56:59], a[28:29], v[24:25], v[56:59]// 00000000A164: D3F30038 0CE2311C
	buffer_load_dwordx4 a[60:63], v203, s[12:15], 0 offen offset:3072// 00000000A16C: E05C1C00 80833CCB
	v_mfma_f32_16x16x32_fp8_fp8 v[56:59], a[30:31], v[26:27], v[56:59]// 00000000A174: D3F30038 0CE2351E
	s_waitcnt vmcnt(16)                                        // 00000000A17C: BF8C4F70
	v_pk_mul_f32 v[28:29], v[124:125], v[28:29]                // 00000000A180: D3B1401C 1802397C
	v_pk_mul_f32 v[30:31], v[124:125], v[30:31]                // 00000000A188: D3B1401E 18023D7C
	v_mul_f32_dpp v28, v128, v28 row_newbcast:0 row_mask:0xf bank_mask:0xf// 00000000A190: 0A3838FA FF015080
	v_mul_f32_dpp v29, v128, v29 row_newbcast:1 row_mask:0xf bank_mask:0xf// 00000000A198: 0A3A3AFA FF015180
	v_mul_f32_dpp v30, v128, v30 row_newbcast:2 row_mask:0xf bank_mask:0xf// 00000000A1A0: 0A3C3CFA FF015280
	v_mul_f32_dpp v31, v128, v31 row_newbcast:3 row_mask:0xf bank_mask:0xf// 00000000A1A8: 0A3E3EFA FF015380
	v_pk_mul_f32 v[32:33], v[124:125], v[32:33]                // 00000000A1B0: D3B14020 1802417C
	v_pk_mul_f32 v[34:35], v[124:125], v[34:35]                // 00000000A1B8: D3B14022 1802457C
	v_mul_f32_dpp v32, v128, v32 row_newbcast:4 row_mask:0xf bank_mask:0xf// 00000000A1C0: 0A4040FA FF015480
	v_mul_f32_dpp v33, v128, v33 row_newbcast:5 row_mask:0xf bank_mask:0xf// 00000000A1C8: 0A4242FA FF015580
	v_mul_f32_dpp v34, v128, v34 row_newbcast:6 row_mask:0xf bank_mask:0xf// 00000000A1D0: 0A4444FA FF015680
	v_mul_f32_dpp v35, v128, v35 row_newbcast:7 row_mask:0xf bank_mask:0xf// 00000000A1D8: 0A4646FA FF015780
	v_pk_mul_f32 v[36:37], v[124:125], v[36:37]                // 00000000A1E0: D3B14024 1802497C
	v_pk_mul_f32 v[38:39], v[124:125], v[38:39]                // 00000000A1E8: D3B14026 18024D7C
	v_mul_f32_dpp v36, v128, v36 row_newbcast:8 row_mask:0xf bank_mask:0xf// 00000000A1F0: 0A4848FA FF015880
	v_mul_f32_dpp v37, v128, v37 row_newbcast:9 row_mask:0xf bank_mask:0xf// 00000000A1F8: 0A4A4AFA FF015980
	v_mul_f32_dpp v38, v128, v38 row_newbcast:10 row_mask:0xf bank_mask:0xf// 00000000A200: 0A4C4CFA FF015A80
	v_mul_f32_dpp v39, v128, v39 row_newbcast:11 row_mask:0xf bank_mask:0xf// 00000000A208: 0A4E4EFA FF015B80
	v_pk_mul_f32 v[40:41], v[124:125], v[40:41]                // 00000000A210: D3B14028 1802517C
	v_pk_mul_f32 v[42:43], v[124:125], v[42:43]                // 00000000A218: D3B1402A 1802557C
	v_mul_f32_dpp v40, v128, v40 row_newbcast:12 row_mask:0xf bank_mask:0xf// 00000000A220: 0A5050FA FF015C80
	v_mul_f32_dpp v41, v128, v41 row_newbcast:13 row_mask:0xf bank_mask:0xf// 00000000A228: 0A5252FA FF015D80
	v_mul_f32_dpp v42, v128, v42 row_newbcast:14 row_mask:0xf bank_mask:0xf// 00000000A230: 0A5454FA FF015E80
	v_mul_f32_dpp v43, v128, v43 row_newbcast:15 row_mask:0xf bank_mask:0xf// 00000000A238: 0A5656FA FF015F80
	v_pk_mul_f32 v[44:45], v[126:127], v[44:45]                // 00000000A240: D3B1402C 1802597E
	v_pk_mul_f32 v[46:47], v[126:127], v[46:47]                // 00000000A248: D3B1402E 18025D7E
	v_mul_f32_dpp v44, v128, v44 row_newbcast:0 row_mask:0xf bank_mask:0xf// 00000000A250: 0A5858FA FF015080
	v_mul_f32_dpp v45, v128, v45 row_newbcast:1 row_mask:0xf bank_mask:0xf// 00000000A258: 0A5A5AFA FF015180
	v_mul_f32_dpp v46, v128, v46 row_newbcast:2 row_mask:0xf bank_mask:0xf// 00000000A260: 0A5C5CFA FF015280
	v_mul_f32_dpp v47, v128, v47 row_newbcast:3 row_mask:0xf bank_mask:0xf// 00000000A268: 0A5E5EFA FF015380
	v_pk_mul_f32 v[48:49], v[126:127], v[48:49]                // 00000000A270: D3B14030 1802617E
	v_pk_mul_f32 v[50:51], v[126:127], v[50:51]                // 00000000A278: D3B14032 1802657E
	v_mul_f32_dpp v48, v128, v48 row_newbcast:4 row_mask:0xf bank_mask:0xf// 00000000A280: 0A6060FA FF015480
	v_mul_f32_dpp v49, v128, v49 row_newbcast:5 row_mask:0xf bank_mask:0xf// 00000000A288: 0A6262FA FF015580
	v_mul_f32_dpp v50, v128, v50 row_newbcast:6 row_mask:0xf bank_mask:0xf// 00000000A290: 0A6464FA FF015680
	v_mul_f32_dpp v51, v128, v51 row_newbcast:7 row_mask:0xf bank_mask:0xf// 00000000A298: 0A6666FA FF015780
	v_pk_mul_f32 v[52:53], v[126:127], v[52:53]                // 00000000A2A0: D3B14034 1802697E
	v_pk_mul_f32 v[54:55], v[126:127], v[54:55]                // 00000000A2A8: D3B14036 18026D7E
	v_mul_f32_dpp v52, v128, v52 row_newbcast:8 row_mask:0xf bank_mask:0xf// 00000000A2B0: 0A6868FA FF015880
	v_mul_f32_dpp v53, v128, v53 row_newbcast:9 row_mask:0xf bank_mask:0xf// 00000000A2B8: 0A6A6AFA FF015980
	v_mul_f32_dpp v54, v128, v54 row_newbcast:10 row_mask:0xf bank_mask:0xf// 00000000A2C0: 0A6C6CFA FF015A80
	v_mul_f32_dpp v55, v128, v55 row_newbcast:11 row_mask:0xf bank_mask:0xf// 00000000A2C8: 0A6E6EFA FF015B80
	v_pk_mul_f32 v[56:57], v[126:127], v[56:57]                // 00000000A2D0: D3B14038 1802717E
	v_pk_mul_f32 v[58:59], v[126:127], v[58:59]                // 00000000A2D8: D3B1403A 1802757E
	v_mul_f32_dpp v56, v128, v56 row_newbcast:12 row_mask:0xf bank_mask:0xf// 00000000A2E0: 0A7070FA FF015C80
	v_mul_f32_dpp v57, v128, v57 row_newbcast:13 row_mask:0xf bank_mask:0xf// 00000000A2E8: 0A7272FA FF015D80
	v_mul_f32_dpp v58, v128, v58 row_newbcast:14 row_mask:0xf bank_mask:0xf// 00000000A2F0: 0A7474FA FF015E80
	v_mul_f32_dpp v59, v128, v59 row_newbcast:15 row_mask:0xf bank_mask:0xf// 00000000A2F8: 0A7676FA FF015F80
	v_add_u32_e32 v186, s64, v196                              // 00000000A300: 69758840
	v_add_u32_e32 v187, 0, v186                                // 00000000A304: 69777480
	v_cmp_lt_u32_e64 s[98:99], v187, v194                      // 00000000A308: D0C90062 000385BB
	s_nop 0                                                    // 00000000A310: BF800000
	v_cndmask_b32_e64 v28, v197, v28, s[98:99]                 // 00000000A314: D100001C 018A39C5
	v_add_u32_e32 v187, 1, v186                                // 00000000A31C: 69777481
	v_cmp_lt_u32_e64 s[98:99], v187, v194                      // 00000000A320: D0C90062 000385BB
	s_nop 0                                                    // 00000000A328: BF800000
	v_cndmask_b32_e64 v29, v197, v29, s[98:99]                 // 00000000A32C: D100001D 018A3BC5
	v_add_u32_e32 v187, 2, v186                                // 00000000A334: 69777482
	v_cmp_lt_u32_e64 s[98:99], v187, v194                      // 00000000A338: D0C90062 000385BB
	s_nop 0                                                    // 00000000A340: BF800000
	v_cndmask_b32_e64 v30, v197, v30, s[98:99]                 // 00000000A344: D100001E 018A3DC5
	v_add_u32_e32 v187, 3, v186                                // 00000000A34C: 69777483
	v_cmp_lt_u32_e64 s[98:99], v187, v194                      // 00000000A350: D0C90062 000385BB
	s_nop 0                                                    // 00000000A358: BF800000
	v_cndmask_b32_e64 v31, v197, v31, s[98:99]                 // 00000000A35C: D100001F 018A3FC5
	v_add_u32_e32 v187, 64, v186                               // 00000000A364: 697774C0
	v_cmp_lt_u32_e64 s[98:99], v187, v194                      // 00000000A368: D0C90062 000385BB
	s_nop 0                                                    // 00000000A370: BF800000
	v_cndmask_b32_e64 v32, v197, v32, s[98:99]                 // 00000000A374: D1000020 018A41C5
	v_add_u32_e32 v187, 0x41, v186                             // 00000000A37C: 697774FF 00000041
	v_cmp_lt_u32_e64 s[98:99], v187, v194                      // 00000000A384: D0C90062 000385BB
	s_nop 0                                                    // 00000000A38C: BF800000
	v_cndmask_b32_e64 v33, v197, v33, s[98:99]                 // 00000000A390: D1000021 018A43C5
	v_add_u32_e32 v187, 0x42, v186                             // 00000000A398: 697774FF 00000042
	v_cmp_lt_u32_e64 s[98:99], v187, v194                      // 00000000A3A0: D0C90062 000385BB
	s_nop 0                                                    // 00000000A3A8: BF800000
	v_cndmask_b32_e64 v34, v197, v34, s[98:99]                 // 00000000A3AC: D1000022 018A45C5
	v_add_u32_e32 v187, 0x43, v186                             // 00000000A3B4: 697774FF 00000043
	v_cmp_lt_u32_e64 s[98:99], v187, v194                      // 00000000A3BC: D0C90062 000385BB
	s_nop 0                                                    // 00000000A3C4: BF800000
	v_cndmask_b32_e64 v35, v197, v35, s[98:99]                 // 00000000A3C8: D1000023 018A47C5
	v_add_u32_e32 v187, 0x80, v186                             // 00000000A3D0: 697774FF 00000080
	v_cmp_lt_u32_e64 s[98:99], v187, v194                      // 00000000A3D8: D0C90062 000385BB
	s_nop 0                                                    // 00000000A3E0: BF800000
	v_cndmask_b32_e64 v36, v197, v36, s[98:99]                 // 00000000A3E4: D1000024 018A49C5
	v_add_u32_e32 v187, 0x81, v186                             // 00000000A3EC: 697774FF 00000081
	v_cmp_lt_u32_e64 s[98:99], v187, v194                      // 00000000A3F4: D0C90062 000385BB
	s_nop 0                                                    // 00000000A3FC: BF800000
	v_cndmask_b32_e64 v37, v197, v37, s[98:99]                 // 00000000A400: D1000025 018A4BC5
	v_add_u32_e32 v187, 0x82, v186                             // 00000000A408: 697774FF 00000082
	v_cmp_lt_u32_e64 s[98:99], v187, v194                      // 00000000A410: D0C90062 000385BB
	s_nop 0                                                    // 00000000A418: BF800000
	v_cndmask_b32_e64 v38, v197, v38, s[98:99]                 // 00000000A41C: D1000026 018A4DC5
	v_add_u32_e32 v187, 0x83, v186                             // 00000000A424: 697774FF 00000083
	v_cmp_lt_u32_e64 s[98:99], v187, v194                      // 00000000A42C: D0C90062 000385BB
	s_nop 0                                                    // 00000000A434: BF800000
	v_cndmask_b32_e64 v39, v197, v39, s[98:99]                 // 00000000A438: D1000027 018A4FC5
	v_add_u32_e32 v187, 0xc0, v186                             // 00000000A440: 697774FF 000000C0
	v_cmp_lt_u32_e64 s[98:99], v187, v194                      // 00000000A448: D0C90062 000385BB
	s_nop 0                                                    // 00000000A450: BF800000
	v_cndmask_b32_e64 v40, v197, v40, s[98:99]                 // 00000000A454: D1000028 018A51C5
	v_add_u32_e32 v187, 0xc1, v186                             // 00000000A45C: 697774FF 000000C1
	v_cmp_lt_u32_e64 s[98:99], v187, v194                      // 00000000A464: D0C90062 000385BB
	s_nop 0                                                    // 00000000A46C: BF800000
	v_cndmask_b32_e64 v41, v197, v41, s[98:99]                 // 00000000A470: D1000029 018A53C5
	v_add_u32_e32 v187, 0xc2, v186                             // 00000000A478: 697774FF 000000C2
	v_cmp_lt_u32_e64 s[98:99], v187, v194                      // 00000000A480: D0C90062 000385BB
	s_nop 0                                                    // 00000000A488: BF800000
	v_cndmask_b32_e64 v42, v197, v42, s[98:99]                 // 00000000A48C: D100002A 018A55C5
	v_add_u32_e32 v187, 0xc3, v186                             // 00000000A494: 697774FF 000000C3
	v_cmp_lt_u32_e64 s[98:99], v187, v194                      // 00000000A49C: D0C90062 000385BB
	s_nop 0                                                    // 00000000A4A4: BF800000
	v_cndmask_b32_e64 v43, v197, v43, s[98:99]                 // 00000000A4A8: D100002B 018A57C5
	v_add_u32_e32 v187, 0, v186                                // 00000000A4B0: 69777480
	v_cmp_lt_u32_e64 s[98:99], v187, v195                      // 00000000A4B4: D0C90062 000387BB
	s_nop 0                                                    // 00000000A4BC: BF800000
	v_cndmask_b32_e64 v44, v197, v44, s[98:99]                 // 00000000A4C0: D100002C 018A59C5
	v_add_u32_e32 v187, 1, v186                                // 00000000A4C8: 69777481
	v_cmp_lt_u32_e64 s[98:99], v187, v195                      // 00000000A4CC: D0C90062 000387BB
	s_nop 0                                                    // 00000000A4D4: BF800000
	v_cndmask_b32_e64 v45, v197, v45, s[98:99]                 // 00000000A4D8: D100002D 018A5BC5
	v_add_u32_e32 v187, 2, v186                                // 00000000A4E0: 69777482
	v_cmp_lt_u32_e64 s[98:99], v187, v195                      // 00000000A4E4: D0C90062 000387BB
	s_nop 0                                                    // 00000000A4EC: BF800000
	v_cndmask_b32_e64 v46, v197, v46, s[98:99]                 // 00000000A4F0: D100002E 018A5DC5
	v_add_u32_e32 v187, 3, v186                                // 00000000A4F8: 69777483
	v_cmp_lt_u32_e64 s[98:99], v187, v195                      // 00000000A4FC: D0C90062 000387BB
	s_nop 0                                                    // 00000000A504: BF800000
	v_cndmask_b32_e64 v47, v197, v47, s[98:99]                 // 00000000A508: D100002F 018A5FC5
	v_add_u32_e32 v187, 64, v186                               // 00000000A510: 697774C0
	v_cmp_lt_u32_e64 s[98:99], v187, v195                      // 00000000A514: D0C90062 000387BB
	s_nop 0                                                    // 00000000A51C: BF800000
	v_cndmask_b32_e64 v48, v197, v48, s[98:99]                 // 00000000A520: D1000030 018A61C5
	v_add_u32_e32 v187, 0x41, v186                             // 00000000A528: 697774FF 00000041
	v_cmp_lt_u32_e64 s[98:99], v187, v195                      // 00000000A530: D0C90062 000387BB
	s_nop 0                                                    // 00000000A538: BF800000
	v_cndmask_b32_e64 v49, v197, v49, s[98:99]                 // 00000000A53C: D1000031 018A63C5
	v_add_u32_e32 v187, 0x42, v186                             // 00000000A544: 697774FF 00000042
	v_cmp_lt_u32_e64 s[98:99], v187, v195                      // 00000000A54C: D0C90062 000387BB
	s_nop 0                                                    // 00000000A554: BF800000
	v_cndmask_b32_e64 v50, v197, v50, s[98:99]                 // 00000000A558: D1000032 018A65C5
	v_add_u32_e32 v187, 0x43, v186                             // 00000000A560: 697774FF 00000043
	v_cmp_lt_u32_e64 s[98:99], v187, v195                      // 00000000A568: D0C90062 000387BB
	s_nop 0                                                    // 00000000A570: BF800000
	v_cndmask_b32_e64 v51, v197, v51, s[98:99]                 // 00000000A574: D1000033 018A67C5
	v_add_u32_e32 v187, 0x80, v186                             // 00000000A57C: 697774FF 00000080
	v_cmp_lt_u32_e64 s[98:99], v187, v195                      // 00000000A584: D0C90062 000387BB
	s_nop 0                                                    // 00000000A58C: BF800000
	v_cndmask_b32_e64 v52, v197, v52, s[98:99]                 // 00000000A590: D1000034 018A69C5
	v_add_u32_e32 v187, 0x81, v186                             // 00000000A598: 697774FF 00000081
	v_cmp_lt_u32_e64 s[98:99], v187, v195                      // 00000000A5A0: D0C90062 000387BB
	s_nop 0                                                    // 00000000A5A8: BF800000
	v_cndmask_b32_e64 v53, v197, v53, s[98:99]                 // 00000000A5AC: D1000035 018A6BC5
	v_add_u32_e32 v187, 0x82, v186                             // 00000000A5B4: 697774FF 00000082
	v_cmp_lt_u32_e64 s[98:99], v187, v195                      // 00000000A5BC: D0C90062 000387BB
	s_nop 0                                                    // 00000000A5C4: BF800000
	v_cndmask_b32_e64 v54, v197, v54, s[98:99]                 // 00000000A5C8: D1000036 018A6DC5
	v_add_u32_e32 v187, 0x83, v186                             // 00000000A5D0: 697774FF 00000083
	v_cmp_lt_u32_e64 s[98:99], v187, v195                      // 00000000A5D8: D0C90062 000387BB
	s_nop 0                                                    // 00000000A5E0: BF800000
	v_cndmask_b32_e64 v55, v197, v55, s[98:99]                 // 00000000A5E4: D1000037 018A6FC5
	v_add_u32_e32 v187, 0xc0, v186                             // 00000000A5EC: 697774FF 000000C0
	v_cmp_lt_u32_e64 s[98:99], v187, v195                      // 00000000A5F4: D0C90062 000387BB
	s_nop 0                                                    // 00000000A5FC: BF800000
	v_cndmask_b32_e64 v56, v197, v56, s[98:99]                 // 00000000A600: D1000038 018A71C5
	v_add_u32_e32 v187, 0xc1, v186                             // 00000000A608: 697774FF 000000C1
	v_cmp_lt_u32_e64 s[98:99], v187, v195                      // 00000000A610: D0C90062 000387BB
	s_nop 0                                                    // 00000000A618: BF800000
	v_cndmask_b32_e64 v57, v197, v57, s[98:99]                 // 00000000A61C: D1000039 018A73C5
	v_add_u32_e32 v187, 0xc2, v186                             // 00000000A624: 697774FF 000000C2
	v_cmp_lt_u32_e64 s[98:99], v187, v195                      // 00000000A62C: D0C90062 000387BB
	s_nop 0                                                    // 00000000A634: BF800000
	v_cndmask_b32_e64 v58, v197, v58, s[98:99]                 // 00000000A638: D100003A 018A75C5
	v_add_u32_e32 v187, 0xc3, v186                             // 00000000A640: 697774FF 000000C3
	v_cmp_lt_u32_e64 s[98:99], v187, v195                      // 00000000A648: D0C90062 000387BB
	s_nop 0                                                    // 00000000A650: BF800000
	v_cndmask_b32_e64 v59, v197, v59, s[98:99]                 // 00000000A654: D100003B 018A77C5
	v_mov_b32_e32 v150, v28                                    // 00000000A65C: 7F2C031C
	v_max3_f32 v150, v28, v29, v150                            // 00000000A660: D1D30096 065A3B1C
	v_max3_f32 v150, v30, v31, v150                            // 00000000A668: D1D30096 065A3F1E
	v_max3_f32 v150, v32, v33, v150                            // 00000000A670: D1D30096 065A4320
	v_max3_f32 v150, v34, v35, v150                            // 00000000A678: D1D30096 065A4722
	v_max3_f32 v150, v36, v37, v150                            // 00000000A680: D1D30096 065A4B24
	v_max3_f32 v150, v38, v39, v150                            // 00000000A688: D1D30096 065A4F26
	v_max3_f32 v150, v40, v41, v150                            // 00000000A690: D1D30096 065A5328
	v_max3_f32 v150, v42, v43, v150                            // 00000000A698: D1D30096 065A572A
	v_mov_b32_e32 v151, v44                                    // 00000000A6A0: 7F2E032C
	v_max3_f32 v151, v44, v45, v151                            // 00000000A6A4: D1D30097 065E5B2C
	v_max3_f32 v151, v46, v47, v151                            // 00000000A6AC: D1D30097 065E5F2E
	v_max3_f32 v151, v48, v49, v151                            // 00000000A6B4: D1D30097 065E6330
	v_max3_f32 v151, v50, v51, v151                            // 00000000A6BC: D1D30097 065E6732
	v_max3_f32 v151, v52, v53, v151                            // 00000000A6C4: D1D30097 065E6B34
	v_max3_f32 v151, v54, v55, v151                            // 00000000A6CC: D1D30097 065E6F36
	v_max3_f32 v151, v56, v57, v151                            // 00000000A6D4: D1D30097 065E7338
	v_max3_f32 v151, v58, v59, v151                            // 00000000A6DC: D1D30097 065E773A
	ds_write_b64 v220, v[150:151]                              // 00000000A6E4: D89A0000 000096DC
	v_pk_mul_f32 v[108:109], v[142:143], v[108:109]            // 00000000A6EC: D3B1406C 1802D98E
	v_pk_mul_f32 v[110:111], v[142:143], v[110:111]            // 00000000A6F4: D3B1406E 1802DD8E
	v_pk_mul_f32 v[112:113], v[142:143], v[112:113]            // 00000000A6FC: D3B14070 1802E18E
	v_pk_mul_f32 v[114:115], v[142:143], v[114:115]            // 00000000A704: D3B14072 1802E58E
	v_pk_mul_f32 v[116:117], v[144:145], v[116:117]            // 00000000A70C: D3B14074 1802E990
	v_pk_mul_f32 v[118:119], v[144:145], v[118:119]            // 00000000A714: D3B14076 1802ED90
	v_pk_mul_f32 v[120:121], v[144:145], v[120:121]            // 00000000A71C: D3B14078 1802F190
	v_pk_mul_f32 v[122:123], v[144:145], v[122:123]            // 00000000A724: D3B1407A 1802F590
	s_waitcnt lgkmcnt(0)                                       // 00000000A72C: BF8CC07F
	s_barrier                                                  // 00000000A730: BF8A0000
	ds_read_b64 v[154:155], v221                               // 00000000A734: D8EC0000 9A0000DD
	ds_read_b64 v[156:157], v221 offset:128                    // 00000000A73C: D8EC0080 9C0000DD
	ds_read_b64 v[158:159], v221 offset:256                    // 00000000A744: D8EC0100 9E0000DD
	ds_read_b64 v[160:161], v221 offset:384                    // 00000000A74C: D8EC0180 A00000DD
	ds_read_b64 v[162:163], v221 offset:512                    // 00000000A754: D8EC0200 A20000DD
	ds_read_b64 v[164:165], v221 offset:640                    // 00000000A75C: D8EC0280 A40000DD
	ds_read_b64 v[166:167], v221 offset:768                    // 00000000A764: D8EC0300 A60000DD
	ds_read_b64 v[168:169], v221 offset:896                    // 00000000A76C: D8EC0380 A80000DD
	ds_read_b64 v[170:171], v221 offset:1024                   // 00000000A774: D8EC0400 AA0000DD
	ds_read_b64 v[172:173], v221 offset:1152                   // 00000000A77C: D8EC0480 AC0000DD
	ds_read_b64 v[174:175], v221 offset:1280                   // 00000000A784: D8EC0500 AE0000DD
	ds_read_b64 v[176:177], v221 offset:1408                   // 00000000A78C: D8EC0580 B00000DD
	ds_read_b64 v[178:179], v221 offset:1536                   // 00000000A794: D8EC0600 B20000DD
	ds_read_b64 v[180:181], v221 offset:1664                   // 00000000A79C: D8EC0680 B40000DD
	ds_read_b64 v[182:183], v221 offset:1792                   // 00000000A7A4: D8EC0700 B60000DD
	ds_read_b64 v[184:185], v221 offset:1920                   // 00000000A7AC: D8EC0780 B80000DD
	v_pk_mul_f32 v[92:93], v[132:133], v[92:93]                // 00000000A7B4: D3B1405C 1802B984
	v_pk_mul_f32 v[94:95], v[132:133], v[94:95]                // 00000000A7BC: D3B1405E 1802BD84
	v_pk_mul_f32 v[96:97], v[132:133], v[96:97]                // 00000000A7C4: D3B14060 1802C184
	v_pk_mul_f32 v[98:99], v[132:133], v[98:99]                // 00000000A7CC: D3B14062 1802C584
	v_pk_mul_f32 v[100:101], v[134:135], v[100:101]            // 00000000A7D4: D3B14064 1802C986
	v_pk_mul_f32 v[102:103], v[134:135], v[102:103]            // 00000000A7DC: D3B14066 1802CD86
	v_pk_mul_f32 v[104:105], v[134:135], v[104:105]            // 00000000A7E4: D3B14068 1802D186
	v_pk_mul_f32 v[106:107], v[134:135], v[106:107]            // 00000000A7EC: D3B1406A 1802D586
	s_waitcnt lgkmcnt(0)                                       // 00000000A7F4: BF8CC07F
	v_max3_f32 v150, v154, v156, v150                          // 00000000A7F8: D1D30096 065B399A
	v_max3_f32 v151, v155, v157, v151                          // 00000000A800: D1D30097 065F3B9B
	v_max3_f32 v150, v158, v160, v150                          // 00000000A808: D1D30096 065B419E
	v_max3_f32 v151, v159, v161, v151                          // 00000000A810: D1D30097 065F439F
	v_max3_f32 v150, v162, v164, v150                          // 00000000A818: D1D30096 065B49A2
	v_max3_f32 v151, v163, v165, v151                          // 00000000A820: D1D30097 065F4BA3
	v_max3_f32 v150, v166, v168, v150                          // 00000000A828: D1D30096 065B51A6
	v_max3_f32 v151, v167, v169, v151                          // 00000000A830: D1D30097 065F53A7
	v_max3_f32 v150, v170, v172, v150                          // 00000000A838: D1D30096 065B59AA
	v_max3_f32 v151, v171, v173, v151                          // 00000000A840: D1D30097 065F5BAB
	v_max3_f32 v150, v174, v176, v150                          // 00000000A848: D1D30096 065B61AE
	v_max3_f32 v151, v175, v177, v151                          // 00000000A850: D1D30097 065F63AF
	v_max3_f32 v150, v178, v180, v150                          // 00000000A858: D1D30096 065B69B2
	v_max3_f32 v151, v179, v181, v151                          // 00000000A860: D1D30097 065F6BB3
	v_max3_f32 v150, v182, v184, v150                          // 00000000A868: D1D30096 065B71B6
	v_max3_f32 v151, v183, v185, v151                          // 00000000A870: D1D30097 065F73B7
	v_max_f32_e32 v140, v150, v138                             // 00000000A878: 17191596
	v_mul_f32_e64 v186, -s46, v140                             // 00000000A87C: D10500BA 2003182E
	v_mov_b32_e32 v187, v186                                   // 00000000A884: 7F7603BA
	v_pk_fma_f32 v[28:29], v[28:29], s[46:47], v[186:187]      // 00000000A888: D3B0401C 1EE85D1C
	v_pk_fma_f32 v[30:31], v[30:31], s[46:47], v[186:187]      // 00000000A890: D3B0401E 1EE85D1E
	v_exp_f32_e32 v28, v28                                     // 00000000A898: 7E38411C
	v_exp_f32_e32 v29, v29                                     // 00000000A89C: 7E3A411D
	v_exp_f32_e32 v30, v30                                     // 00000000A8A0: 7E3C411E
	v_exp_f32_e32 v31, v31                                     // 00000000A8A4: 7E3E411F
	v_pk_fma_f32 v[32:33], v[32:33], s[46:47], v[186:187]      // 00000000A8A8: D3B04020 1EE85D20
	v_pk_fma_f32 v[34:35], v[34:35], s[46:47], v[186:187]      // 00000000A8B0: D3B04022 1EE85D22
	v_exp_f32_e32 v32, v32                                     // 00000000A8B8: 7E404120
	v_exp_f32_e32 v33, v33                                     // 00000000A8BC: 7E424121
	v_exp_f32_e32 v34, v34                                     // 00000000A8C0: 7E444122
	v_exp_f32_e32 v35, v35                                     // 00000000A8C4: 7E464123
	v_pk_fma_f32 v[36:37], v[36:37], s[46:47], v[186:187]      // 00000000A8C8: D3B04024 1EE85D24
	v_pk_fma_f32 v[38:39], v[38:39], s[46:47], v[186:187]      // 00000000A8D0: D3B04026 1EE85D26
	v_exp_f32_e32 v36, v36                                     // 00000000A8D8: 7E484124
	v_exp_f32_e32 v37, v37                                     // 00000000A8DC: 7E4A4125
	v_exp_f32_e32 v38, v38                                     // 00000000A8E0: 7E4C4126
	v_exp_f32_e32 v39, v39                                     // 00000000A8E4: 7E4E4127
	v_pk_fma_f32 v[40:41], v[40:41], s[46:47], v[186:187]      // 00000000A8E8: D3B04028 1EE85D28
	v_pk_fma_f32 v[42:43], v[42:43], s[46:47], v[186:187]      // 00000000A8F0: D3B0402A 1EE85D2A
	v_exp_f32_e32 v40, v40                                     // 00000000A8F8: 7E504128
	v_exp_f32_e32 v41, v41                                     // 00000000A8FC: 7E524129
	v_exp_f32_e32 v42, v42                                     // 00000000A900: 7E54412A
	v_exp_f32_e32 v43, v43                                     // 00000000A904: 7E56412B
	v_max_f32_e32 v141, v151, v139                             // 00000000A908: 171B1797
	v_mul_f32_e64 v186, -s46, v141                             // 00000000A90C: D10500BA 20031A2E
	v_mov_b32_e32 v187, v186                                   // 00000000A914: 7F7603BA
	v_pk_fma_f32 v[44:45], v[44:45], s[46:47], v[186:187]      // 00000000A918: D3B0402C 1EE85D2C
	v_pk_fma_f32 v[46:47], v[46:47], s[46:47], v[186:187]      // 00000000A920: D3B0402E 1EE85D2E
	v_exp_f32_e32 v44, v44                                     // 00000000A928: 7E58412C
	v_exp_f32_e32 v45, v45                                     // 00000000A92C: 7E5A412D
	v_exp_f32_e32 v46, v46                                     // 00000000A930: 7E5C412E
	v_exp_f32_e32 v47, v47                                     // 00000000A934: 7E5E412F
	v_pk_fma_f32 v[48:49], v[48:49], s[46:47], v[186:187]      // 00000000A938: D3B04030 1EE85D30
	v_pk_fma_f32 v[50:51], v[50:51], s[46:47], v[186:187]      // 00000000A940: D3B04032 1EE85D32
	v_exp_f32_e32 v48, v48                                     // 00000000A948: 7E604130
	v_exp_f32_e32 v49, v49                                     // 00000000A94C: 7E624131
	v_exp_f32_e32 v50, v50                                     // 00000000A950: 7E644132
	v_exp_f32_e32 v51, v51                                     // 00000000A954: 7E664133
	v_pk_fma_f32 v[52:53], v[52:53], s[46:47], v[186:187]      // 00000000A958: D3B04034 1EE85D34
	v_pk_fma_f32 v[54:55], v[54:55], s[46:47], v[186:187]      // 00000000A960: D3B04036 1EE85D36
	v_exp_f32_e32 v52, v52                                     // 00000000A968: 7E684134
	v_exp_f32_e32 v53, v53                                     // 00000000A96C: 7E6A4135
	v_exp_f32_e32 v54, v54                                     // 00000000A970: 7E6C4136
	v_exp_f32_e32 v55, v55                                     // 00000000A974: 7E6E4137
	v_pk_fma_f32 v[56:57], v[56:57], s[46:47], v[186:187]      // 00000000A978: D3B04038 1EE85D38
	v_pk_fma_f32 v[58:59], v[58:59], s[46:47], v[186:187]      // 00000000A980: D3B0403A 1EE85D3A
	v_exp_f32_e32 v56, v56                                     // 00000000A988: 7E704138
	v_exp_f32_e32 v57, v57                                     // 00000000A98C: 7E724139
	v_exp_f32_e32 v58, v58                                     // 00000000A990: 7E74413A
	v_exp_f32_e32 v59, v59                                     // 00000000A994: 7E76413B
	v_mul_f32_dpp v60, v130, v28 row_newbcast:0 row_mask:0xf bank_mask:0xf// 00000000A998: 0A7838FA FF015082
	v_mul_f32_dpp v61, v130, v29 row_newbcast:1 row_mask:0xf bank_mask:0xf// 00000000A9A0: 0A7A3AFA FF015182
	v_mul_f32_dpp v62, v130, v30 row_newbcast:2 row_mask:0xf bank_mask:0xf// 00000000A9A8: 0A7C3CFA FF015282
	v_mul_f32_dpp v63, v130, v31 row_newbcast:3 row_mask:0xf bank_mask:0xf// 00000000A9B0: 0A7E3EFA FF015382
	v_mul_f32_dpp v64, v130, v32 row_newbcast:4 row_mask:0xf bank_mask:0xf// 00000000A9B8: 0A8040FA FF015482
	v_mul_f32_dpp v65, v130, v33 row_newbcast:5 row_mask:0xf bank_mask:0xf// 00000000A9C0: 0A8242FA FF015582
	v_mul_f32_dpp v66, v130, v34 row_newbcast:6 row_mask:0xf bank_mask:0xf// 00000000A9C8: 0A8444FA FF015682
	v_mul_f32_dpp v67, v130, v35 row_newbcast:7 row_mask:0xf bank_mask:0xf// 00000000A9D0: 0A8646FA FF015782
	v_mul_f32_dpp v68, v130, v36 row_newbcast:8 row_mask:0xf bank_mask:0xf// 00000000A9D8: 0A8848FA FF015882
	v_mul_f32_dpp v69, v130, v37 row_newbcast:9 row_mask:0xf bank_mask:0xf// 00000000A9E0: 0A8A4AFA FF015982
	v_mul_f32_dpp v70, v130, v38 row_newbcast:10 row_mask:0xf bank_mask:0xf// 00000000A9E8: 0A8C4CFA FF015A82
	v_mul_f32_dpp v71, v130, v39 row_newbcast:11 row_mask:0xf bank_mask:0xf// 00000000A9F0: 0A8E4EFA FF015B82
	v_mul_f32_dpp v72, v130, v40 row_newbcast:12 row_mask:0xf bank_mask:0xf// 00000000A9F8: 0A9050FA FF015C82
	v_mul_f32_dpp v73, v130, v41 row_newbcast:13 row_mask:0xf bank_mask:0xf// 00000000AA00: 0A9252FA FF015D82
	v_mul_f32_dpp v74, v130, v42 row_newbcast:14 row_mask:0xf bank_mask:0xf// 00000000AA08: 0A9454FA FF015E82
	v_mul_f32_dpp v75, v130, v43 row_newbcast:15 row_mask:0xf bank_mask:0xf// 00000000AA10: 0A9656FA FF015F82
	v_mul_f32_dpp v76, v130, v44 row_newbcast:0 row_mask:0xf bank_mask:0xf// 00000000AA18: 0A9858FA FF015082
	v_mul_f32_dpp v77, v130, v45 row_newbcast:1 row_mask:0xf bank_mask:0xf// 00000000AA20: 0A9A5AFA FF015182
	v_mul_f32_dpp v78, v130, v46 row_newbcast:2 row_mask:0xf bank_mask:0xf// 00000000AA28: 0A9C5CFA FF015282
	v_mul_f32_dpp v79, v130, v47 row_newbcast:3 row_mask:0xf bank_mask:0xf// 00000000AA30: 0A9E5EFA FF015382
	v_mul_f32_dpp v80, v130, v48 row_newbcast:4 row_mask:0xf bank_mask:0xf// 00000000AA38: 0AA060FA FF015482
	v_mul_f32_dpp v81, v130, v49 row_newbcast:5 row_mask:0xf bank_mask:0xf// 00000000AA40: 0AA262FA FF015582
	v_mul_f32_dpp v82, v130, v50 row_newbcast:6 row_mask:0xf bank_mask:0xf// 00000000AA48: 0AA464FA FF015682
	v_mul_f32_dpp v83, v130, v51 row_newbcast:7 row_mask:0xf bank_mask:0xf// 00000000AA50: 0AA666FA FF015782
	v_mul_f32_dpp v84, v130, v52 row_newbcast:8 row_mask:0xf bank_mask:0xf// 00000000AA58: 0AA868FA FF015882
	v_mul_f32_dpp v85, v130, v53 row_newbcast:9 row_mask:0xf bank_mask:0xf// 00000000AA60: 0AAA6AFA FF015982
	v_mul_f32_dpp v86, v130, v54 row_newbcast:10 row_mask:0xf bank_mask:0xf// 00000000AA68: 0AAC6CFA FF015A82
	v_mul_f32_dpp v87, v130, v55 row_newbcast:11 row_mask:0xf bank_mask:0xf// 00000000AA70: 0AAE6EFA FF015B82
	v_mul_f32_dpp v88, v130, v56 row_newbcast:12 row_mask:0xf bank_mask:0xf// 00000000AA78: 0AB070FA FF015C82
	v_mul_f32_dpp v89, v130, v57 row_newbcast:13 row_mask:0xf bank_mask:0xf// 00000000AA80: 0AB272FA FF015D82
	v_mul_f32_dpp v90, v130, v58 row_newbcast:14 row_mask:0xf bank_mask:0xf// 00000000AA88: 0AB474FA FF015E82
	v_mul_f32_dpp v91, v130, v59 row_newbcast:15 row_mask:0xf bank_mask:0xf// 00000000AA90: 0AB676FA FF015F82
	v_add_u32_e32 v186, s64, v196                              // 00000000AA98: 69758840
	v_add_u32_e32 v187, 0, v186                                // 00000000AA9C: 69777480
	v_cmp_lt_u32_e32 vcc, v187, v194                           // 00000000AAA0: 7D9385BB
	v_cndmask_b32_e32 v60, 0, v60, vcc                         // 00000000AAA4: 00787880
	v_cmp_lt_u32_e32 vcc, v187, v195                           // 00000000AAA8: 7D9387BB
	v_cndmask_b32_e32 v76, 0, v76, vcc                         // 00000000AAAC: 00989880
	v_add_u32_e32 v187, 1, v186                                // 00000000AAB0: 69777481
	v_cmp_lt_u32_e32 vcc, v187, v194                           // 00000000AAB4: 7D9385BB
	v_cndmask_b32_e32 v61, 0, v61, vcc                         // 00000000AAB8: 007A7A80
	v_cmp_lt_u32_e32 vcc, v187, v195                           // 00000000AABC: 7D9387BB
	v_cndmask_b32_e32 v77, 0, v77, vcc                         // 00000000AAC0: 009A9A80
	v_add_u32_e32 v187, 2, v186                                // 00000000AAC4: 69777482
	v_cmp_lt_u32_e32 vcc, v187, v194                           // 00000000AAC8: 7D9385BB
	v_cndmask_b32_e32 v62, 0, v62, vcc                         // 00000000AACC: 007C7C80
	v_cmp_lt_u32_e32 vcc, v187, v195                           // 00000000AAD0: 7D9387BB
	v_cndmask_b32_e32 v78, 0, v78, vcc                         // 00000000AAD4: 009C9C80
	v_add_u32_e32 v187, 3, v186                                // 00000000AAD8: 69777483
	v_cmp_lt_u32_e32 vcc, v187, v194                           // 00000000AADC: 7D9385BB
	v_cndmask_b32_e32 v63, 0, v63, vcc                         // 00000000AAE0: 007E7E80
	v_cmp_lt_u32_e32 vcc, v187, v195                           // 00000000AAE4: 7D9387BB
	v_cndmask_b32_e32 v79, 0, v79, vcc                         // 00000000AAE8: 009E9E80
	v_add_u32_e32 v187, 64, v186                               // 00000000AAEC: 697774C0
	v_cmp_lt_u32_e32 vcc, v187, v194                           // 00000000AAF0: 7D9385BB
	v_cndmask_b32_e32 v64, 0, v64, vcc                         // 00000000AAF4: 00808080
	v_cmp_lt_u32_e32 vcc, v187, v195                           // 00000000AAF8: 7D9387BB
	v_cndmask_b32_e32 v80, 0, v80, vcc                         // 00000000AAFC: 00A0A080
	v_add_u32_e32 v187, 0x41, v186                             // 00000000AB00: 697774FF 00000041
	v_cmp_lt_u32_e32 vcc, v187, v194                           // 00000000AB08: 7D9385BB
	v_cndmask_b32_e32 v65, 0, v65, vcc                         // 00000000AB0C: 00828280
	v_cmp_lt_u32_e32 vcc, v187, v195                           // 00000000AB10: 7D9387BB
	v_cndmask_b32_e32 v81, 0, v81, vcc                         // 00000000AB14: 00A2A280
	v_add_u32_e32 v187, 0x42, v186                             // 00000000AB18: 697774FF 00000042
	v_cmp_lt_u32_e32 vcc, v187, v194                           // 00000000AB20: 7D9385BB
	v_cndmask_b32_e32 v66, 0, v66, vcc                         // 00000000AB24: 00848480
	v_cmp_lt_u32_e32 vcc, v187, v195                           // 00000000AB28: 7D9387BB
	v_cndmask_b32_e32 v82, 0, v82, vcc                         // 00000000AB2C: 00A4A480
	v_add_u32_e32 v187, 0x43, v186                             // 00000000AB30: 697774FF 00000043
	v_cmp_lt_u32_e32 vcc, v187, v194                           // 00000000AB38: 7D9385BB
	v_cndmask_b32_e32 v67, 0, v67, vcc                         // 00000000AB3C: 00868680
	v_cmp_lt_u32_e32 vcc, v187, v195                           // 00000000AB40: 7D9387BB
	v_cndmask_b32_e32 v83, 0, v83, vcc                         // 00000000AB44: 00A6A680
	v_add_u32_e32 v187, 0x80, v186                             // 00000000AB48: 697774FF 00000080
	v_cmp_lt_u32_e32 vcc, v187, v194                           // 00000000AB50: 7D9385BB
	v_cndmask_b32_e32 v68, 0, v68, vcc                         // 00000000AB54: 00888880
	v_cmp_lt_u32_e32 vcc, v187, v195                           // 00000000AB58: 7D9387BB
	v_cndmask_b32_e32 v84, 0, v84, vcc                         // 00000000AB5C: 00A8A880
	v_add_u32_e32 v187, 0x81, v186                             // 00000000AB60: 697774FF 00000081
	v_cmp_lt_u32_e32 vcc, v187, v194                           // 00000000AB68: 7D9385BB
	v_cndmask_b32_e32 v69, 0, v69, vcc                         // 00000000AB6C: 008A8A80
	v_cmp_lt_u32_e32 vcc, v187, v195                           // 00000000AB70: 7D9387BB
	v_cndmask_b32_e32 v85, 0, v85, vcc                         // 00000000AB74: 00AAAA80
	v_add_u32_e32 v187, 0x82, v186                             // 00000000AB78: 697774FF 00000082
	v_cmp_lt_u32_e32 vcc, v187, v194                           // 00000000AB80: 7D9385BB
	v_cndmask_b32_e32 v70, 0, v70, vcc                         // 00000000AB84: 008C8C80
	v_cmp_lt_u32_e32 vcc, v187, v195                           // 00000000AB88: 7D9387BB
	v_cndmask_b32_e32 v86, 0, v86, vcc                         // 00000000AB8C: 00ACAC80
	v_add_u32_e32 v187, 0x83, v186                             // 00000000AB90: 697774FF 00000083
	v_cmp_lt_u32_e32 vcc, v187, v194                           // 00000000AB98: 7D9385BB
	v_cndmask_b32_e32 v71, 0, v71, vcc                         // 00000000AB9C: 008E8E80
	v_cmp_lt_u32_e32 vcc, v187, v195                           // 00000000ABA0: 7D9387BB
	v_cndmask_b32_e32 v87, 0, v87, vcc                         // 00000000ABA4: 00AEAE80
	v_add_u32_e32 v187, 0xc0, v186                             // 00000000ABA8: 697774FF 000000C0
	v_cmp_lt_u32_e32 vcc, v187, v194                           // 00000000ABB0: 7D9385BB
	v_cndmask_b32_e32 v72, 0, v72, vcc                         // 00000000ABB4: 00909080
	v_cmp_lt_u32_e32 vcc, v187, v195                           // 00000000ABB8: 7D9387BB
	v_cndmask_b32_e32 v88, 0, v88, vcc                         // 00000000ABBC: 00B0B080
	v_add_u32_e32 v187, 0xc1, v186                             // 00000000ABC0: 697774FF 000000C1
	v_cmp_lt_u32_e32 vcc, v187, v194                           // 00000000ABC8: 7D9385BB
	v_cndmask_b32_e32 v73, 0, v73, vcc                         // 00000000ABCC: 00929280
	v_cmp_lt_u32_e32 vcc, v187, v195                           // 00000000ABD0: 7D9387BB
	v_cndmask_b32_e32 v89, 0, v89, vcc                         // 00000000ABD4: 00B2B280
	v_add_u32_e32 v187, 0xc2, v186                             // 00000000ABD8: 697774FF 000000C2
	v_cmp_lt_u32_e32 vcc, v187, v194                           // 00000000ABE0: 7D9385BB
	v_cndmask_b32_e32 v74, 0, v74, vcc                         // 00000000ABE4: 00949480
	v_cmp_lt_u32_e32 vcc, v187, v195                           // 00000000ABE8: 7D9387BB
	v_cndmask_b32_e32 v90, 0, v90, vcc                         // 00000000ABEC: 00B4B480
	v_add_u32_e32 v187, 0xc3, v186                             // 00000000ABF0: 697774FF 000000C3
	v_cmp_lt_u32_e32 vcc, v187, v194                           // 00000000ABF8: 7D9385BB
	v_cndmask_b32_e32 v75, 0, v75, vcc                         // 00000000ABFC: 00969680
	v_cmp_lt_u32_e32 vcc, v187, v195                           // 00000000AC00: 7D9387BB
	v_cndmask_b32_e32 v91, 0, v91, vcc                         // 00000000AC04: 00B6B680
	v_mov_b32_e32 v150, 0x358637bd                             // 00000000AC08: 7F2C02FF 358637BD
	v_max3_f32 v150, |v60|, |v61|, v150                        // 00000000AC10: D1D30396 065A7B3C
	v_max3_f32 v150, |v62|, |v63|, v150                        // 00000000AC18: D1D30396 065A7F3E
	v_max3_f32 v150, |v64|, |v65|, v150                        // 00000000AC20: D1D30396 065A8340
	v_max3_f32 v150, |v66|, |v67|, v150                        // 00000000AC28: D1D30396 065A8742
	v_max3_f32 v150, |v68|, |v69|, v150                        // 00000000AC30: D1D30396 065A8B44
	v_max3_f32 v150, |v70|, |v71|, v150                        // 00000000AC38: D1D30396 065A8F46
	v_max3_f32 v150, |v72|, |v73|, v150                        // 00000000AC40: D1D30396 065A9348
	v_max3_f32 v150, |v74|, |v75|, v150                        // 00000000AC48: D1D30396 065A974A
	v_mov_b32_e32 v151, 0x358637bd                             // 00000000AC50: 7F2E02FF 358637BD
	v_max3_f32 v151, |v76|, |v77|, v151                        // 00000000AC58: D1D30397 065E9B4C
	v_max3_f32 v151, |v78|, |v79|, v151                        // 00000000AC60: D1D30397 065E9F4E
	v_max3_f32 v151, |v80|, |v81|, v151                        // 00000000AC68: D1D30397 065EA350
	v_max3_f32 v151, |v82|, |v83|, v151                        // 00000000AC70: D1D30397 065EA752
	v_max3_f32 v151, |v84|, |v85|, v151                        // 00000000AC78: D1D30397 065EAB54
	v_max3_f32 v151, |v86|, |v87|, v151                        // 00000000AC80: D1D30397 065EAF56
	v_max3_f32 v151, |v88|, |v89|, v151                        // 00000000AC88: D1D30397 065EB358
	v_max3_f32 v151, |v90|, |v91|, v151                        // 00000000AC90: D1D30397 065EB75A
	ds_write_b64 v220, v[150:151] offset:2304                  // 00000000AC98: D89A0900 000096DC
	buffer_load_dword v129, v208, s[20:23], 0 offen            // 00000000ACA0: E0501000 800581D0
	v_sub_f32_e32 v142, v138, v140                             // 00000000ACA8: 051D198A
	v_cmp_eq_u32_e64 s[98:99], v197, v138                      // 00000000ACAC: D0CA0062 000315C5
	v_cndmask_b32_e64 v142, v142, 0, s[98:99]                  // 00000000ACB4: D100008E 0189018E
	v_mov_b32_e32 v138, v140                                   // 00000000ACBC: 7F14038C
	v_mul_f32_e32 v142, s46, v142                              // 00000000ACC0: 0B1D1C2E
	v_exp_f32_e32 v142, v142                                   // 00000000ACC4: 7F1C418E
	v_sub_f32_e32 v144, v139, v141                             // 00000000ACC8: 05211B8B
	v_cmp_eq_u32_e64 s[98:99], v197, v139                      // 00000000ACCC: D0CA0062 000317C5
	v_cndmask_b32_e64 v144, v144, 0, s[98:99]                  // 00000000ACD4: D1000090 01890190
	v_mov_b32_e32 v139, v141                                   // 00000000ACDC: 7F16038D
	v_mul_f32_e32 v144, s46, v144                              // 00000000ACE0: 0B21202E
	v_exp_f32_e32 v144, v144                                   // 00000000ACE4: 7F204190
	v_mov_b32_e32 v143, v142                                   // 00000000ACE8: 7F1E038E
	v_mov_b32_e32 v145, v144                                   // 00000000ACEC: 7F220390
	buffer_load_dword v131, v209, s[24:27], 0 offen            // 00000000ACF0: E0501000 800683D1
	s_waitcnt lgkmcnt(0)                                       // 00000000ACF8: BF8CC07F
	s_barrier                                                  // 00000000ACFC: BF8A0000
	ds_read_b64 v[154:155], v221 offset:2304                   // 00000000AD00: D8EC0900 9A0000DD
	ds_read_b64 v[156:157], v221 offset:2432                   // 00000000AD08: D8EC0980 9C0000DD
	ds_read_b64 v[158:159], v221 offset:2560                   // 00000000AD10: D8EC0A00 9E0000DD
	ds_read_b64 v[160:161], v221 offset:2688                   // 00000000AD18: D8EC0A80 A00000DD
	ds_read_b64 v[162:163], v221 offset:2816                   // 00000000AD20: D8EC0B00 A20000DD
	ds_read_b64 v[164:165], v221 offset:2944                   // 00000000AD28: D8EC0B80 A40000DD
	ds_read_b64 v[166:167], v221 offset:3072                   // 00000000AD30: D8EC0C00 A60000DD
	ds_read_b64 v[168:169], v221 offset:3200                   // 00000000AD38: D8EC0C80 A80000DD
	ds_read_b64 v[170:171], v221 offset:3328                   // 00000000AD40: D8EC0D00 AA0000DD
	ds_read_b64 v[172:173], v221 offset:3456                   // 00000000AD48: D8EC0D80 AC0000DD
	ds_read_b64 v[174:175], v221 offset:3584                   // 00000000AD50: D8EC0E00 AE0000DD
	ds_read_b64 v[176:177], v221 offset:3712                   // 00000000AD58: D8EC0E80 B00000DD
	ds_read_b64 v[178:179], v221 offset:3840                   // 00000000AD60: D8EC0F00 B20000DD
	ds_read_b64 v[180:181], v221 offset:3968                   // 00000000AD68: D8EC0F80 B40000DD
	ds_read_b64 v[182:183], v221 offset:4096                   // 00000000AD70: D8EC1000 B60000DD
	ds_read_b64 v[184:185], v221 offset:4224                   // 00000000AD78: D8EC1080 B80000DD
	v_mul_f32_e32 v146, v142, v146                             // 00000000AD80: 0B25258E
	v_mov_b32_e32 v147, 0                                      // 00000000AD84: 7F260280
	v_pk_add_f32 v[146:147], v[28:29], v[146:147]              // 00000000AD88: D3B24092 1803251C
	v_pk_add_f32 v[146:147], v[30:31], v[146:147]              // 00000000AD90: D3B24092 1803251E
	v_pk_add_f32 v[146:147], v[32:33], v[146:147]              // 00000000AD98: D3B24092 18032520
	v_pk_add_f32 v[146:147], v[34:35], v[146:147]              // 00000000ADA0: D3B24092 18032522
	v_pk_add_f32 v[146:147], v[36:37], v[146:147]              // 00000000ADA8: D3B24092 18032524
	v_pk_add_f32 v[146:147], v[38:39], v[146:147]              // 00000000ADB0: D3B24092 18032526
	v_pk_add_f32 v[146:147], v[40:41], v[146:147]              // 00000000ADB8: D3B24092 18032528
	v_pk_add_f32 v[146:147], v[42:43], v[146:147]              // 00000000ADC0: D3B24092 1803252A
	v_add_f32_e32 v146, v147, v146                             // 00000000ADC8: 03252593
	v_mul_f32_e32 v148, v144, v148                             // 00000000ADCC: 0B292990
	v_mov_b32_e32 v149, 0                                      // 00000000ADD0: 7F2A0280
	v_pk_add_f32 v[148:149], v[44:45], v[148:149]              // 00000000ADD4: D3B24094 1803292C
	v_pk_add_f32 v[148:149], v[46:47], v[148:149]              // 00000000ADDC: D3B24094 1803292E
	v_pk_add_f32 v[148:149], v[48:49], v[148:149]              // 00000000ADE4: D3B24094 18032930
	v_pk_add_f32 v[148:149], v[50:51], v[148:149]              // 00000000ADEC: D3B24094 18032932
	v_pk_add_f32 v[148:149], v[52:53], v[148:149]              // 00000000ADF4: D3B24094 18032934
	v_pk_add_f32 v[148:149], v[54:55], v[148:149]              // 00000000ADFC: D3B24094 18032936
	v_pk_add_f32 v[148:149], v[56:57], v[148:149]              // 00000000AE04: D3B24094 18032938
	v_pk_add_f32 v[148:149], v[58:59], v[148:149]              // 00000000AE0C: D3B24094 1803293A
	v_add_f32_e32 v148, v149, v148                             // 00000000AE14: 03292995
	s_waitcnt lgkmcnt(0)                                       // 00000000AE18: BF8CC07F
	v_max3_f32 v150, v154, v156, v150                          // 00000000AE1C: D1D30096 065B399A
	v_max3_f32 v151, v155, v157, v151                          // 00000000AE24: D1D30097 065F3B9B
	v_max3_f32 v150, v158, v160, v150                          // 00000000AE2C: D1D30096 065B419E
	v_max3_f32 v151, v159, v161, v151                          // 00000000AE34: D1D30097 065F439F
	v_max3_f32 v150, v162, v164, v150                          // 00000000AE3C: D1D30096 065B49A2
	v_max3_f32 v151, v163, v165, v151                          // 00000000AE44: D1D30097 065F4BA3
	v_max3_f32 v150, v166, v168, v150                          // 00000000AE4C: D1D30096 065B51A6
	v_max3_f32 v151, v167, v169, v151                          // 00000000AE54: D1D30097 065F53A7
	v_max3_f32 v150, v170, v172, v150                          // 00000000AE5C: D1D30096 065B59AA
	v_max3_f32 v151, v171, v173, v151                          // 00000000AE64: D1D30097 065F5BAB
	v_max3_f32 v150, v174, v176, v150                          // 00000000AE6C: D1D30096 065B61AE
	v_max3_f32 v151, v175, v177, v151                          // 00000000AE74: D1D30097 065F63AF
	v_max3_f32 v150, v178, v180, v150                          // 00000000AE7C: D1D30096 065B69B2
	v_max3_f32 v151, v179, v181, v151                          // 00000000AE84: D1D30097 065F6BB3
	v_max3_f32 v150, v182, v184, v150                          // 00000000AE8C: D1D30096 065B71B6
	v_max3_f32 v151, v183, v185, v151                          // 00000000AE94: D1D30097 065F73B7
	v_rcp_f32_e32 v150, v150                                   // 00000000AE9C: 7F2C4596
	v_rcp_f32_e32 v151, v151                                   // 00000000AEA0: 7F2E4597
	v_mul_f32_e32 v150, 0x43700000, v150                       // 00000000AEA4: 0B2D2CFF 43700000
	v_mul_f32_e32 v151, 0x43700000, v151                       // 00000000AEAC: 0B2F2EFF 43700000
	v_mov_b32_e32 v152, v151                                   // 00000000AEB4: 7F300397
	v_mov_b32_e32 v153, v151                                   // 00000000AEB8: 7F320397
	v_mov_b32_e32 v151, v150                                   // 00000000AEBC: 7F2E0396
	v_pk_mul_f32 v[28:29], v[150:151], v[60:61]                // 00000000AEC0: D3B1401C 18027996
	v_pk_mul_f32 v[30:31], v[150:151], v[62:63]                // 00000000AEC8: D3B1401E 18027D96
	v_pk_mul_f32 v[32:33], v[150:151], v[64:65]                // 00000000AED0: D3B14020 18028196
	v_pk_mul_f32 v[34:35], v[150:151], v[66:67]                // 00000000AED8: D3B14022 18028596
	v_pk_mul_f32 v[36:37], v[150:151], v[68:69]                // 00000000AEE0: D3B14024 18028996
	v_pk_mul_f32 v[38:39], v[150:151], v[70:71]                // 00000000AEE8: D3B14026 18028D96
	v_pk_mul_f32 v[40:41], v[150:151], v[72:73]                // 00000000AEF0: D3B14028 18029196
	v_pk_mul_f32 v[42:43], v[150:151], v[74:75]                // 00000000AEF8: D3B1402A 18029596
	v_pk_mul_f32 v[44:45], v[152:153], v[76:77]                // 00000000AF00: D3B1402C 18029998
	v_pk_mul_f32 v[46:47], v[152:153], v[78:79]                // 00000000AF08: D3B1402E 18029D98
	v_pk_mul_f32 v[48:49], v[152:153], v[80:81]                // 00000000AF10: D3B14030 1802A198
	v_pk_mul_f32 v[50:51], v[152:153], v[82:83]                // 00000000AF18: D3B14032 1802A598
	v_pk_mul_f32 v[52:53], v[152:153], v[84:85]                // 00000000AF20: D3B14034 1802A998
	v_pk_mul_f32 v[54:55], v[152:153], v[86:87]                // 00000000AF28: D3B14036 1802AD98
	v_pk_mul_f32 v[56:57], v[152:153], v[88:89]                // 00000000AF30: D3B14038 1802B198
	v_pk_mul_f32 v[58:59], v[152:153], v[90:91]                // 00000000AF38: D3B1403A 1802B598
	v_cvt_pk_fp8_f32 v28, v28, v29                             // 00000000AF40: D2A2001C 00023B1C
	v_cvt_pk_fp8_f32 v28, v30, v31 op_sel:[0,0,1]              // 00000000AF48: D2A2401C 00023F1E
	v_cvt_pk_fp8_f32 v29, v32, v33                             // 00000000AF50: D2A2001D 00024320
	v_cvt_pk_fp8_f32 v29, v34, v35 op_sel:[0,0,1]              // 00000000AF58: D2A2401D 00024722
	v_cvt_pk_fp8_f32 v30, v36, v37                             // 00000000AF60: D2A2001E 00024B24
	v_cvt_pk_fp8_f32 v30, v38, v39 op_sel:[0,0,1]              // 00000000AF68: D2A2401E 00024F26
	v_cvt_pk_fp8_f32 v31, v40, v41                             // 00000000AF70: D2A2001F 00025328
	v_cvt_pk_fp8_f32 v31, v42, v43 op_sel:[0,0,1]              // 00000000AF78: D2A2401F 0002572A
	v_cvt_pk_fp8_f32 v32, v44, v45                             // 00000000AF80: D2A20020 00025B2C
	v_cvt_pk_fp8_f32 v32, v46, v47 op_sel:[0,0,1]              // 00000000AF88: D2A24020 00025F2E
	v_cvt_pk_fp8_f32 v33, v48, v49                             // 00000000AF90: D2A20021 00026330
	v_cvt_pk_fp8_f32 v33, v50, v51 op_sel:[0,0,1]              // 00000000AF98: D2A24021 00026732
	v_cvt_pk_fp8_f32 v34, v52, v53                             // 00000000AFA0: D2A20022 00026B34
	v_cvt_pk_fp8_f32 v34, v54, v55 op_sel:[0,0,1]              // 00000000AFA8: D2A24022 00026F36
	v_cvt_pk_fp8_f32 v35, v56, v57                             // 00000000AFB0: D2A20023 00027338
	v_cvt_pk_fp8_f32 v35, v58, v59 op_sel:[0,0,1]              // 00000000AFB8: D2A24023 0002773A
	ds_write_b32 v222, v28 offset:4608                         // 00000000AFC0: D81A1200 00001CDE
	ds_write_b32 v222, v29 offset:5632                         // 00000000AFC8: D81A1600 00001DDE
	ds_write_b32 v222, v30 offset:6656                         // 00000000AFD0: D81A1A00 00001EDE
	ds_write_b32 v222, v31 offset:7680                         // 00000000AFD8: D81A1E00 00001FDE
	ds_write_b32 v222, v32 offset:8704                         // 00000000AFE0: D81A2200 000020DE
	ds_write_b32 v222, v33 offset:9728                         // 00000000AFE8: D81A2600 000021DE
	ds_write_b32 v222, v34 offset:10752                        // 00000000AFF0: D81A2A00 000022DE
	ds_write_b32 v222, v35 offset:11776                        // 00000000AFF8: D81A2E00 000023DE
	v_rcp_f32_e32 v132, v150                                   // 00000000B000: 7F084596
	v_rcp_f32_e32 v134, v152                                   // 00000000B004: 7F0C4598
	v_mov_b32_e32 v133, v132                                   // 00000000B008: 7F0A0384
	v_mov_b32_e32 v135, v134                                   // 00000000B00C: 7F0E0386
	v_pk_add_f32 v[108:109], v[108:109], v[92:93]              // 00000000B010: D3B2406C 1802B96C
	v_pk_add_f32 v[110:111], v[110:111], v[94:95]              // 00000000B018: D3B2406E 1802BD6E
	v_pk_add_f32 v[112:113], v[112:113], v[96:97]              // 00000000B020: D3B24070 1802C170
	v_pk_add_f32 v[114:115], v[114:115], v[98:99]              // 00000000B028: D3B24072 1802C572
	v_pk_add_f32 v[116:117], v[116:117], v[100:101]            // 00000000B030: D3B24074 1802C974
	v_pk_add_f32 v[118:119], v[118:119], v[102:103]            // 00000000B038: D3B24076 1802CD76
	v_pk_add_f32 v[120:121], v[120:121], v[104:105]            // 00000000B040: D3B24078 1802D178
	v_pk_add_f32 v[122:123], v[122:123], v[106:107]            // 00000000B048: D3B2407A 1802D57A
	s_waitcnt lgkmcnt(0)                                       // 00000000B050: BF8CC07F
	s_barrier                                                  // 00000000B054: BF8A0000
	ds_read_b128 v[28:31], v223 offset:4608                    // 00000000B058: D9FE1200 1C0000DF
	ds_read_b128 v[32:35], v223 offset:5632                    // 00000000B060: D9FE1600 200000DF
	ds_read_b128 v[36:39], v223 offset:6656                    // 00000000B068: D9FE1A00 240000DF
	ds_read_b128 v[40:43], v223 offset:7680                    // 00000000B070: D9FE1E00 280000DF
	ds_read_b128 v[44:47], v223 offset:8704                    // 00000000B078: D9FE2200 2C0000DF
	ds_read_b128 v[48:51], v223 offset:9728                    // 00000000B080: D9FE2600 300000DF
	ds_read_b128 v[52:55], v223 offset:10752                   // 00000000B088: D9FE2A00 340000DF
	ds_read_b128 v[56:59], v223 offset:11776                   // 00000000B090: D9FE2E00 380000DF
	s_waitcnt vmcnt(10)                                        // 00000000B098: BF8C0F7A
	v_lshrrev_b32_e32 v136, 4, v0                              // 00000000B09C: 21100084
	v_lshlrev_b32_e32 v136, 4, v136                            // 00000000B0A0: 25111084
	v_add_u32_e32 v186, s64, v136                              // 00000000B0A4: 69751040
	v_add_u32_e32 v186, 4, v186                                // 00000000B0A8: 69757484
	v_sub_i32 v186, v186, s62                                  // 00000000B0AC: D29D00BA 00007DBA
	s_mov_b32 s54, 0                                           // 00000000B0B4: BEB60080
	v_add_i32 v187, s54, v186                                  // 00000000B0B8: D29C00BB 00037436
	v_cmp_lt_i32_e64 vcc, v187, 4                              // 00000000B0C0: D0C1006A 000109BB
	v_min_u32_e32 v187, 4, v187                                // 00000000B0C8: 1D777684
	v_lshlrev_b32_e32 v187, 3, v187                            // 00000000B0CC: 25777683
	v_lshrrev_b32_e64 v188, v187, -1                           // 00000000B0D0: D11000BC 000183BB
	v_accvgpr_read_b32 v189, a64                               // 00000000B0D8: D3D840BD 18000140
	v_cndmask_b32_e32 v189, 0, v189, vcc                       // 00000000B0E0: 017B7A80
	v_and_b32_e32 v189, v189, v188                             // 00000000B0E4: 277B79BD
	v_accvgpr_write_b32 a64, v189                              // 00000000B0E8: D3D94040 180001BD
	v_accvgpr_read_b32 v189, a80                               // 00000000B0F0: D3D840BD 18000150
	v_cndmask_b32_e32 v189, 0, v189, vcc                       // 00000000B0F8: 017B7A80
	v_and_b32_e32 v189, v189, v188                             // 00000000B0FC: 277B79BD
	v_accvgpr_write_b32 a80, v189                              // 00000000B100: D3D94050 180001BD
	s_mov_b32 s54, 4                                           // 00000000B108: BEB60084
	v_add_i32 v187, s54, v186                                  // 00000000B10C: D29C00BB 00037436
	v_cmp_lt_i32_e64 vcc, v187, 4                              // 00000000B114: D0C1006A 000109BB
	v_min_u32_e32 v187, 4, v187                                // 00000000B11C: 1D777684
	v_lshlrev_b32_e32 v187, 3, v187                            // 00000000B120: 25777683
	v_lshrrev_b32_e64 v188, v187, -1                           // 00000000B124: D11000BC 000183BB
	v_accvgpr_read_b32 v189, a65                               // 00000000B12C: D3D840BD 18000141
	v_cndmask_b32_e32 v189, 0, v189, vcc                       // 00000000B134: 017B7A80
	v_and_b32_e32 v189, v189, v188                             // 00000000B138: 277B79BD
	v_accvgpr_write_b32 a65, v189                              // 00000000B13C: D3D94041 180001BD
	v_accvgpr_read_b32 v189, a81                               // 00000000B144: D3D840BD 18000151
	v_cndmask_b32_e32 v189, 0, v189, vcc                       // 00000000B14C: 017B7A80
	v_and_b32_e32 v189, v189, v188                             // 00000000B150: 277B79BD
	v_accvgpr_write_b32 a81, v189                              // 00000000B154: D3D94051 180001BD
	s_mov_b32 s54, 8                                           // 00000000B15C: BEB60088
	v_add_i32 v187, s54, v186                                  // 00000000B160: D29C00BB 00037436
	v_cmp_lt_i32_e64 vcc, v187, 4                              // 00000000B168: D0C1006A 000109BB
	v_min_u32_e32 v187, 4, v187                                // 00000000B170: 1D777684
	v_lshlrev_b32_e32 v187, 3, v187                            // 00000000B174: 25777683
	v_lshrrev_b32_e64 v188, v187, -1                           // 00000000B178: D11000BC 000183BB
	v_accvgpr_read_b32 v189, a66                               // 00000000B180: D3D840BD 18000142
	v_cndmask_b32_e32 v189, 0, v189, vcc                       // 00000000B188: 017B7A80
	v_and_b32_e32 v189, v189, v188                             // 00000000B18C: 277B79BD
	v_accvgpr_write_b32 a66, v189                              // 00000000B190: D3D94042 180001BD
	v_accvgpr_read_b32 v189, a82                               // 00000000B198: D3D840BD 18000152
	v_cndmask_b32_e32 v189, 0, v189, vcc                       // 00000000B1A0: 017B7A80
	v_and_b32_e32 v189, v189, v188                             // 00000000B1A4: 277B79BD
	v_accvgpr_write_b32 a82, v189                              // 00000000B1A8: D3D94052 180001BD
	s_mov_b32 s54, 12                                          // 00000000B1B0: BEB6008C
	v_add_i32 v187, s54, v186                                  // 00000000B1B4: D29C00BB 00037436
	v_cmp_lt_i32_e64 vcc, v187, 4                              // 00000000B1BC: D0C1006A 000109BB
	v_min_u32_e32 v187, 4, v187                                // 00000000B1C4: 1D777684
	v_lshlrev_b32_e32 v187, 3, v187                            // 00000000B1C8: 25777683
	v_lshrrev_b32_e64 v188, v187, -1                           // 00000000B1CC: D11000BC 000183BB
	v_accvgpr_read_b32 v189, a67                               // 00000000B1D4: D3D840BD 18000143
	v_cndmask_b32_e32 v189, 0, v189, vcc                       // 00000000B1DC: 017B7A80
	v_and_b32_e32 v189, v189, v188                             // 00000000B1E0: 277B79BD
	v_accvgpr_write_b32 a67, v189                              // 00000000B1E4: D3D94043 180001BD
	v_accvgpr_read_b32 v189, a83                               // 00000000B1EC: D3D840BD 18000153
	v_cndmask_b32_e32 v189, 0, v189, vcc                       // 00000000B1F4: 017B7A80
	v_and_b32_e32 v189, v189, v188                             // 00000000B1F8: 277B79BD
	v_accvgpr_write_b32 a83, v189                              // 00000000B1FC: D3D94053 180001BD
	s_mov_b32 s54, 64                                          // 00000000B204: BEB600C0
	v_add_i32 v187, s54, v186                                  // 00000000B208: D29C00BB 00037436
	v_cmp_lt_i32_e64 vcc, v187, 4                              // 00000000B210: D0C1006A 000109BB
	v_min_u32_e32 v187, 4, v187                                // 00000000B218: 1D777684
	v_lshlrev_b32_e32 v187, 3, v187                            // 00000000B21C: 25777683
	v_lshrrev_b32_e64 v188, v187, -1                           // 00000000B220: D11000BC 000183BB
	v_accvgpr_read_b32 v189, a68                               // 00000000B228: D3D840BD 18000144
	v_cndmask_b32_e32 v189, 0, v189, vcc                       // 00000000B230: 017B7A80
	v_and_b32_e32 v189, v189, v188                             // 00000000B234: 277B79BD
	v_accvgpr_write_b32 a68, v189                              // 00000000B238: D3D94044 180001BD
	v_accvgpr_read_b32 v189, a84                               // 00000000B240: D3D840BD 18000154
	v_cndmask_b32_e32 v189, 0, v189, vcc                       // 00000000B248: 017B7A80
	v_and_b32_e32 v189, v189, v188                             // 00000000B24C: 277B79BD
	v_accvgpr_write_b32 a84, v189                              // 00000000B250: D3D94054 180001BD
	s_mov_b32 s54, 0x44                                        // 00000000B258: BEB600FF 00000044
	v_add_i32 v187, s54, v186                                  // 00000000B260: D29C00BB 00037436
	v_cmp_lt_i32_e64 vcc, v187, 4                              // 00000000B268: D0C1006A 000109BB
	v_min_u32_e32 v187, 4, v187                                // 00000000B270: 1D777684
	v_lshlrev_b32_e32 v187, 3, v187                            // 00000000B274: 25777683
	v_lshrrev_b32_e64 v188, v187, -1                           // 00000000B278: D11000BC 000183BB
	v_accvgpr_read_b32 v189, a69                               // 00000000B280: D3D840BD 18000145
	v_cndmask_b32_e32 v189, 0, v189, vcc                       // 00000000B288: 017B7A80
	v_and_b32_e32 v189, v189, v188                             // 00000000B28C: 277B79BD
	v_accvgpr_write_b32 a69, v189                              // 00000000B290: D3D94045 180001BD
	v_accvgpr_read_b32 v189, a85                               // 00000000B298: D3D840BD 18000155
	v_cndmask_b32_e32 v189, 0, v189, vcc                       // 00000000B2A0: 017B7A80
	v_and_b32_e32 v189, v189, v188                             // 00000000B2A4: 277B79BD
	v_accvgpr_write_b32 a85, v189                              // 00000000B2A8: D3D94055 180001BD
	s_mov_b32 s54, 0x48                                        // 00000000B2B0: BEB600FF 00000048
	v_add_i32 v187, s54, v186                                  // 00000000B2B8: D29C00BB 00037436
	v_cmp_lt_i32_e64 vcc, v187, 4                              // 00000000B2C0: D0C1006A 000109BB
	v_min_u32_e32 v187, 4, v187                                // 00000000B2C8: 1D777684
	v_lshlrev_b32_e32 v187, 3, v187                            // 00000000B2CC: 25777683
	v_lshrrev_b32_e64 v188, v187, -1                           // 00000000B2D0: D11000BC 000183BB
	v_accvgpr_read_b32 v189, a70                               // 00000000B2D8: D3D840BD 18000146
	v_cndmask_b32_e32 v189, 0, v189, vcc                       // 00000000B2E0: 017B7A80
	v_and_b32_e32 v189, v189, v188                             // 00000000B2E4: 277B79BD
	v_accvgpr_write_b32 a70, v189                              // 00000000B2E8: D3D94046 180001BD
	v_accvgpr_read_b32 v189, a86                               // 00000000B2F0: D3D840BD 18000156
	v_cndmask_b32_e32 v189, 0, v189, vcc                       // 00000000B2F8: 017B7A80
	v_and_b32_e32 v189, v189, v188                             // 00000000B2FC: 277B79BD
	v_accvgpr_write_b32 a86, v189                              // 00000000B300: D3D94056 180001BD
	s_mov_b32 s54, 0x4c                                        // 00000000B308: BEB600FF 0000004C
	v_add_i32 v187, s54, v186                                  // 00000000B310: D29C00BB 00037436
	v_cmp_lt_i32_e64 vcc, v187, 4                              // 00000000B318: D0C1006A 000109BB
	v_min_u32_e32 v187, 4, v187                                // 00000000B320: 1D777684
	v_lshlrev_b32_e32 v187, 3, v187                            // 00000000B324: 25777683
	v_lshrrev_b32_e64 v188, v187, -1                           // 00000000B328: D11000BC 000183BB
	v_accvgpr_read_b32 v189, a71                               // 00000000B330: D3D840BD 18000147
	v_cndmask_b32_e32 v189, 0, v189, vcc                       // 00000000B338: 017B7A80
	v_and_b32_e32 v189, v189, v188                             // 00000000B33C: 277B79BD
	v_accvgpr_write_b32 a71, v189                              // 00000000B340: D3D94047 180001BD
	v_accvgpr_read_b32 v189, a87                               // 00000000B348: D3D840BD 18000157
	v_cndmask_b32_e32 v189, 0, v189, vcc                       // 00000000B350: 017B7A80
	v_and_b32_e32 v189, v189, v188                             // 00000000B354: 277B79BD
	v_accvgpr_write_b32 a87, v189                              // 00000000B358: D3D94057 180001BD
	s_mov_b32 s54, 0x80                                        // 00000000B360: BEB600FF 00000080
	v_add_i32 v187, s54, v186                                  // 00000000B368: D29C00BB 00037436
	v_cmp_lt_i32_e64 vcc, v187, 4                              // 00000000B370: D0C1006A 000109BB
	v_min_u32_e32 v187, 4, v187                                // 00000000B378: 1D777684
	v_lshlrev_b32_e32 v187, 3, v187                            // 00000000B37C: 25777683
	v_lshrrev_b32_e64 v188, v187, -1                           // 00000000B380: D11000BC 000183BB
	v_accvgpr_read_b32 v189, a72                               // 00000000B388: D3D840BD 18000148
	v_cndmask_b32_e32 v189, 0, v189, vcc                       // 00000000B390: 017B7A80
	v_and_b32_e32 v189, v189, v188                             // 00000000B394: 277B79BD
	v_accvgpr_write_b32 a72, v189                              // 00000000B398: D3D94048 180001BD
	v_accvgpr_read_b32 v189, a88                               // 00000000B3A0: D3D840BD 18000158
	v_cndmask_b32_e32 v189, 0, v189, vcc                       // 00000000B3A8: 017B7A80
	v_and_b32_e32 v189, v189, v188                             // 00000000B3AC: 277B79BD
	v_accvgpr_write_b32 a88, v189                              // 00000000B3B0: D3D94058 180001BD
	s_mov_b32 s54, 0x84                                        // 00000000B3B8: BEB600FF 00000084
	v_add_i32 v187, s54, v186                                  // 00000000B3C0: D29C00BB 00037436
	v_cmp_lt_i32_e64 vcc, v187, 4                              // 00000000B3C8: D0C1006A 000109BB
	v_min_u32_e32 v187, 4, v187                                // 00000000B3D0: 1D777684
	v_lshlrev_b32_e32 v187, 3, v187                            // 00000000B3D4: 25777683
	v_lshrrev_b32_e64 v188, v187, -1                           // 00000000B3D8: D11000BC 000183BB
	v_accvgpr_read_b32 v189, a73                               // 00000000B3E0: D3D840BD 18000149
	v_cndmask_b32_e32 v189, 0, v189, vcc                       // 00000000B3E8: 017B7A80
	v_and_b32_e32 v189, v189, v188                             // 00000000B3EC: 277B79BD
	v_accvgpr_write_b32 a73, v189                              // 00000000B3F0: D3D94049 180001BD
	v_accvgpr_read_b32 v189, a89                               // 00000000B3F8: D3D840BD 18000159
	v_cndmask_b32_e32 v189, 0, v189, vcc                       // 00000000B400: 017B7A80
	v_and_b32_e32 v189, v189, v188                             // 00000000B404: 277B79BD
	v_accvgpr_write_b32 a89, v189                              // 00000000B408: D3D94059 180001BD
	s_mov_b32 s54, 0x88                                        // 00000000B410: BEB600FF 00000088
	v_add_i32 v187, s54, v186                                  // 00000000B418: D29C00BB 00037436
	v_cmp_lt_i32_e64 vcc, v187, 4                              // 00000000B420: D0C1006A 000109BB
	v_min_u32_e32 v187, 4, v187                                // 00000000B428: 1D777684
	v_lshlrev_b32_e32 v187, 3, v187                            // 00000000B42C: 25777683
	v_lshrrev_b32_e64 v188, v187, -1                           // 00000000B430: D11000BC 000183BB
	v_accvgpr_read_b32 v189, a74                               // 00000000B438: D3D840BD 1800014A
	v_cndmask_b32_e32 v189, 0, v189, vcc                       // 00000000B440: 017B7A80
	v_and_b32_e32 v189, v189, v188                             // 00000000B444: 277B79BD
	v_accvgpr_write_b32 a74, v189                              // 00000000B448: D3D9404A 180001BD
	v_accvgpr_read_b32 v189, a90                               // 00000000B450: D3D840BD 1800015A
	v_cndmask_b32_e32 v189, 0, v189, vcc                       // 00000000B458: 017B7A80
	v_and_b32_e32 v189, v189, v188                             // 00000000B45C: 277B79BD
	v_accvgpr_write_b32 a90, v189                              // 00000000B460: D3D9405A 180001BD
	s_mov_b32 s54, 0x8c                                        // 00000000B468: BEB600FF 0000008C
	v_add_i32 v187, s54, v186                                  // 00000000B470: D29C00BB 00037436
	v_cmp_lt_i32_e64 vcc, v187, 4                              // 00000000B478: D0C1006A 000109BB
	v_min_u32_e32 v187, 4, v187                                // 00000000B480: 1D777684
	v_lshlrev_b32_e32 v187, 3, v187                            // 00000000B484: 25777683
	v_lshrrev_b32_e64 v188, v187, -1                           // 00000000B488: D11000BC 000183BB
	v_accvgpr_read_b32 v189, a75                               // 00000000B490: D3D840BD 1800014B
	v_cndmask_b32_e32 v189, 0, v189, vcc                       // 00000000B498: 017B7A80
	v_and_b32_e32 v189, v189, v188                             // 00000000B49C: 277B79BD
	v_accvgpr_write_b32 a75, v189                              // 00000000B4A0: D3D9404B 180001BD
	v_accvgpr_read_b32 v189, a91                               // 00000000B4A8: D3D840BD 1800015B
	v_cndmask_b32_e32 v189, 0, v189, vcc                       // 00000000B4B0: 017B7A80
	v_and_b32_e32 v189, v189, v188                             // 00000000B4B4: 277B79BD
	v_accvgpr_write_b32 a91, v189                              // 00000000B4B8: D3D9405B 180001BD
	s_mov_b32 s54, 0xc0                                        // 00000000B4C0: BEB600FF 000000C0
	v_add_i32 v187, s54, v186                                  // 00000000B4C8: D29C00BB 00037436
	v_cmp_lt_i32_e64 vcc, v187, 4                              // 00000000B4D0: D0C1006A 000109BB
	v_min_u32_e32 v187, 4, v187                                // 00000000B4D8: 1D777684
	v_lshlrev_b32_e32 v187, 3, v187                            // 00000000B4DC: 25777683
	v_lshrrev_b32_e64 v188, v187, -1                           // 00000000B4E0: D11000BC 000183BB
	v_accvgpr_read_b32 v189, a76                               // 00000000B4E8: D3D840BD 1800014C
	v_cndmask_b32_e32 v189, 0, v189, vcc                       // 00000000B4F0: 017B7A80
	v_and_b32_e32 v189, v189, v188                             // 00000000B4F4: 277B79BD
	v_accvgpr_write_b32 a76, v189                              // 00000000B4F8: D3D9404C 180001BD
	v_accvgpr_read_b32 v189, a92                               // 00000000B500: D3D840BD 1800015C
	v_cndmask_b32_e32 v189, 0, v189, vcc                       // 00000000B508: 017B7A80
	v_and_b32_e32 v189, v189, v188                             // 00000000B50C: 277B79BD
	v_accvgpr_write_b32 a92, v189                              // 00000000B510: D3D9405C 180001BD
	s_mov_b32 s54, 0xc4                                        // 00000000B518: BEB600FF 000000C4
	v_add_i32 v187, s54, v186                                  // 00000000B520: D29C00BB 00037436
	v_cmp_lt_i32_e64 vcc, v187, 4                              // 00000000B528: D0C1006A 000109BB
	v_min_u32_e32 v187, 4, v187                                // 00000000B530: 1D777684
	v_lshlrev_b32_e32 v187, 3, v187                            // 00000000B534: 25777683
	v_lshrrev_b32_e64 v188, v187, -1                           // 00000000B538: D11000BC 000183BB
	v_accvgpr_read_b32 v189, a77                               // 00000000B540: D3D840BD 1800014D
	v_cndmask_b32_e32 v189, 0, v189, vcc                       // 00000000B548: 017B7A80
	v_and_b32_e32 v189, v189, v188                             // 00000000B54C: 277B79BD
	v_accvgpr_write_b32 a77, v189                              // 00000000B550: D3D9404D 180001BD
	v_accvgpr_read_b32 v189, a93                               // 00000000B558: D3D840BD 1800015D
	v_cndmask_b32_e32 v189, 0, v189, vcc                       // 00000000B560: 017B7A80
	v_and_b32_e32 v189, v189, v188                             // 00000000B564: 277B79BD
	v_accvgpr_write_b32 a93, v189                              // 00000000B568: D3D9405D 180001BD
	s_mov_b32 s54, 0xc8                                        // 00000000B570: BEB600FF 000000C8
	v_add_i32 v187, s54, v186                                  // 00000000B578: D29C00BB 00037436
	v_cmp_lt_i32_e64 vcc, v187, 4                              // 00000000B580: D0C1006A 000109BB
	v_min_u32_e32 v187, 4, v187                                // 00000000B588: 1D777684
	v_lshlrev_b32_e32 v187, 3, v187                            // 00000000B58C: 25777683
	v_lshrrev_b32_e64 v188, v187, -1                           // 00000000B590: D11000BC 000183BB
	v_accvgpr_read_b32 v189, a78                               // 00000000B598: D3D840BD 1800014E
	v_cndmask_b32_e32 v189, 0, v189, vcc                       // 00000000B5A0: 017B7A80
	v_and_b32_e32 v189, v189, v188                             // 00000000B5A4: 277B79BD
	v_accvgpr_write_b32 a78, v189                              // 00000000B5A8: D3D9404E 180001BD
	v_accvgpr_read_b32 v189, a94                               // 00000000B5B0: D3D840BD 1800015E
	v_cndmask_b32_e32 v189, 0, v189, vcc                       // 00000000B5B8: 017B7A80
	v_and_b32_e32 v189, v189, v188                             // 00000000B5BC: 277B79BD
	v_accvgpr_write_b32 a94, v189                              // 00000000B5C0: D3D9405E 180001BD
	s_mov_b32 s54, 0xcc                                        // 00000000B5C8: BEB600FF 000000CC
	v_add_i32 v187, s54, v186                                  // 00000000B5D0: D29C00BB 00037436
	v_cmp_lt_i32_e64 vcc, v187, 4                              // 00000000B5D8: D0C1006A 000109BB
	v_min_u32_e32 v187, 4, v187                                // 00000000B5E0: 1D777684
	v_lshlrev_b32_e32 v187, 3, v187                            // 00000000B5E4: 25777683
	v_lshrrev_b32_e64 v188, v187, -1                           // 00000000B5E8: D11000BC 000183BB
	v_accvgpr_read_b32 v189, a79                               // 00000000B5F0: D3D840BD 1800014F
	v_cndmask_b32_e32 v189, 0, v189, vcc                       // 00000000B5F8: 017B7A80
	v_and_b32_e32 v189, v189, v188                             // 00000000B5FC: 277B79BD
	v_accvgpr_write_b32 a79, v189                              // 00000000B600: D3D9404F 180001BD
	v_accvgpr_read_b32 v189, a95                               // 00000000B608: D3D840BD 1800015F
	v_cndmask_b32_e32 v189, 0, v189, vcc                       // 00000000B610: 017B7A80
	v_and_b32_e32 v189, v189, v188                             // 00000000B614: 277B79BD
	v_accvgpr_write_b32 a95, v189                              // 00000000B618: D3D9405F 180001BD
	s_waitcnt lgkmcnt(7)                                       // 00000000B620: BF8CC77F
	v_mfma_f32_16x16x32_fp8_fp8 v[92:95], a[64:65], v[28:29], 0// 00000000B624: D3F3005C 0A023940
	s_lshl_b32 s68, s76, 2                                     // 00000000B62C: 8E44824C
	v_mfma_f32_16x16x32_fp8_fp8 v[96:99], a[80:81], v[28:29], 0// 00000000B630: D3F30060 0A023950
	s_cmp_lt_u32 s76, s77                                      // 00000000B638: BF0A4D4C
	s_cselect_b32 s68, s68, 0                                  // 00000000B63C: 85448044
	v_mfma_f32_16x16x32_fp8_fp8 v[92:95], a[66:67], v[30:31], v[92:95]// 00000000B640: D3F3005C 0D723D42
	buffer_load_dwordx4 a[96:99], v204, s[16:19], 0 offen      // 00000000B648: E05C1000 808460CC
	v_mfma_f32_16x16x32_fp8_fp8 v[96:99], a[82:83], v[30:31], v[96:99]// 00000000B650: D3F30060 0D823D52
	s_addk_i32 s76, 0x1                                        // 00000000B658: B74C0001
	s_waitcnt lgkmcnt(6)                                       // 00000000B65C: BF8CC67F
	v_mfma_f32_16x16x32_fp8_fp8 v[92:95], a[68:69], v[32:33], v[92:95]// 00000000B660: D3F3005C 0D724144
	v_mfma_f32_16x16x32_fp8_fp8 v[96:99], a[84:85], v[32:33], v[96:99]// 00000000B668: D3F30060 0D824154
	v_mfma_f32_16x16x32_fp8_fp8 v[92:95], a[70:71], v[34:35], v[92:95]// 00000000B670: D3F3005C 0D724546
	buffer_load_dwordx4 a[100:103], v205, s[16:19], 0 offen    // 00000000B678: E05C1000 808464CD
	v_mfma_f32_16x16x32_fp8_fp8 v[96:99], a[86:87], v[34:35], v[96:99]// 00000000B680: D3F30060 0D824556
	s_waitcnt lgkmcnt(5)                                       // 00000000B688: BF8CC57F
	v_mfma_f32_16x16x32_fp8_fp8 v[92:95], a[72:73], v[36:37], v[92:95]// 00000000B68C: D3F3005C 0D724948
	v_mfma_f32_16x16x32_fp8_fp8 v[96:99], a[88:89], v[36:37], v[96:99]// 00000000B694: D3F30060 0D824958
	v_mfma_f32_16x16x32_fp8_fp8 v[92:95], a[74:75], v[38:39], v[92:95]// 00000000B69C: D3F3005C 0D724D4A
	buffer_load_dwordx4 a[104:107], v206, s[16:19], 0 offen    // 00000000B6A4: E05C1000 808468CE
	v_mfma_f32_16x16x32_fp8_fp8 v[96:99], a[90:91], v[38:39], v[96:99]// 00000000B6AC: D3F30060 0D824D5A
	s_waitcnt lgkmcnt(4)                                       // 00000000B6B4: BF8CC47F
	v_mfma_f32_16x16x32_fp8_fp8 v[92:95], a[76:77], v[40:41], v[92:95]// 00000000B6B8: D3F3005C 0D72514C
	v_mfma_f32_16x16x32_fp8_fp8 v[96:99], a[92:93], v[40:41], v[96:99]// 00000000B6C0: D3F30060 0D82515C
	v_mfma_f32_16x16x32_fp8_fp8 v[92:95], a[78:79], v[42:43], v[92:95]// 00000000B6C8: D3F3005C 0D72554E
	buffer_load_dwordx4 a[108:111], v207, s[16:19], 0 offen    // 00000000B6D0: E05C1000 80846CCF
	v_mfma_f32_16x16x32_fp8_fp8 v[96:99], a[94:95], v[42:43], v[96:99]// 00000000B6D8: D3F30060 0D82555E
	s_waitcnt lgkmcnt(3)                                       // 00000000B6E0: BF8CC37F
	v_mfma_f32_16x16x32_fp8_fp8 v[100:103], a[64:65], v[44:45], 0// 00000000B6E4: D3F30064 0A025940
	v_mfma_f32_16x16x32_fp8_fp8 v[104:107], a[80:81], v[44:45], 0// 00000000B6EC: D3F30068 0A025950
	v_mfma_f32_16x16x32_fp8_fp8 v[100:103], a[66:67], v[46:47], v[100:103]// 00000000B6F4: D3F30064 0D925D42
	buffer_load_dwordx4 a[112:115], v204, s[16:19], 0 offen offset:1024// 00000000B6FC: E05C1400 808470CC
	v_mfma_f32_16x16x32_fp8_fp8 v[104:107], a[82:83], v[46:47], v[104:107]// 00000000B704: D3F30068 0DA25D52
	s_waitcnt lgkmcnt(2)                                       // 00000000B70C: BF8CC27F
	v_mfma_f32_16x16x32_fp8_fp8 v[100:103], a[68:69], v[48:49], v[100:103]// 00000000B710: D3F30064 0D926144
	v_mfma_f32_16x16x32_fp8_fp8 v[104:107], a[84:85], v[48:49], v[104:107]// 00000000B718: D3F30068 0DA26154
	v_mfma_f32_16x16x32_fp8_fp8 v[100:103], a[70:71], v[50:51], v[100:103]// 00000000B720: D3F30064 0D926546
	buffer_load_dwordx4 a[116:119], v205, s[16:19], 0 offen offset:1024// 00000000B728: E05C1400 808474CD
	v_mfma_f32_16x16x32_fp8_fp8 v[104:107], a[86:87], v[50:51], v[104:107]// 00000000B730: D3F30068 0DA26556
	s_waitcnt lgkmcnt(1)                                       // 00000000B738: BF8CC17F
	v_mfma_f32_16x16x32_fp8_fp8 v[100:103], a[72:73], v[52:53], v[100:103]// 00000000B73C: D3F30064 0D926948
	v_mfma_f32_16x16x32_fp8_fp8 v[104:107], a[88:89], v[52:53], v[104:107]// 00000000B744: D3F30068 0DA26958
	v_mfma_f32_16x16x32_fp8_fp8 v[100:103], a[74:75], v[54:55], v[100:103]// 00000000B74C: D3F30064 0D926D4A
	buffer_load_dwordx4 a[120:123], v206, s[16:19], 0 offen offset:1024// 00000000B754: E05C1400 808478CE
	v_mfma_f32_16x16x32_fp8_fp8 v[104:107], a[90:91], v[54:55], v[104:107]// 00000000B75C: D3F30068 0DA26D5A
	s_waitcnt lgkmcnt(0)                                       // 00000000B764: BF8CC07F
	v_mfma_f32_16x16x32_fp8_fp8 v[100:103], a[76:77], v[56:57], v[100:103]// 00000000B768: D3F30064 0D92714C
	v_mfma_f32_16x16x32_fp8_fp8 v[104:107], a[92:93], v[56:57], v[104:107]// 00000000B770: D3F30068 0DA2715C
	v_mfma_f32_16x16x32_fp8_fp8 v[100:103], a[78:79], v[58:59], v[100:103]// 00000000B778: D3F30064 0D92754E
	buffer_load_dwordx4 a[124:127], v207, s[16:19], 0 offen offset:1024// 00000000B780: E05C1400 80847CCF
	v_mfma_f32_16x16x32_fp8_fp8 v[104:107], a[94:95], v[58:59], v[104:107]// 00000000B788: D3F30068 0DA2755E
	s_load_dword s59, s[42:43], s68                            // 00000000B790: C0000ED5 00000044
	s_addk_i32 s64, 0x100                                      // 00000000B798: B7400100

000000000000b79c <label_23E7>:
	s_cmp_lt_i32 s64, s62                                      // 00000000B79C: BF043E40
	s_cbranch_scc0 label_3592                                  // 00000000B7A0: BF8411A9
	s_waitcnt vmcnt(10)                                        // 00000000B7A4: BF8C0F7A
	v_mfma_f32_16x16x32_fp8_fp8 v[28:31], a[32:33], v[12:13], 0// 00000000B7A8: D3F3001C 0A021920
	s_add_u32 s12, s86, s69                                    // 00000000B7B0: 800C4556
	s_addc_u32 s13, s87, 0                                     // 00000000B7B4: 820D8057
	v_mfma_f32_16x16x32_fp8_fp8 v[28:31], a[34:35], v[14:15], v[28:31]// 00000000B7B8: D3F3001C 0C721D22
	s_add_u32 s16, s88, s70                                    // 00000000B7C0: 80104658
	s_addc_u32 s17, s89, 0                                     // 00000000B7C4: 82118059
	v_mfma_f32_16x16x32_fp8_fp8 v[28:31], a[36:37], v[16:17], v[28:31]// 00000000B7C8: D3F3001C 0C722124
	buffer_load_dwordx4 a[0:3], v202, s[12:15], 0 offen        // 00000000B7D0: E05C1000 808300CA
	v_mfma_f32_16x16x32_fp8_fp8 v[28:31], a[38:39], v[18:19], v[28:31]// 00000000B7D8: D3F3001C 0C722526
	s_add_u32 s20, s90, s71                                    // 00000000B7E0: 8014475A
	s_addc_u32 s21, s91, 0                                     // 00000000B7E4: 8215805B
	v_mfma_f32_16x16x32_fp8_fp8 v[32:35], a[40:41], v[12:13], 0// 00000000B7E8: D3F30020 0A021928
	s_add_u32 s24, s92, s71                                    // 00000000B7F0: 8018475C
	s_addc_u32 s25, s93, 0                                     // 00000000B7F4: 8219805D
	v_mfma_f32_16x16x32_fp8_fp8 v[32:35], a[42:43], v[14:15], v[32:35]// 00000000B7F8: D3F30020 0C821D2A
	s_add_u32 s69, s69, 0x1000                                 // 00000000B800: 8045FF45 00001000
	s_add_u32 s70, s70, 0x8000                                 // 00000000B808: 8046FF46 00008000
	v_mfma_f32_16x16x32_fp8_fp8 v[32:35], a[44:45], v[16:17], v[32:35]// 00000000B810: D3F30020 0C82212C
	buffer_load_dwordx4 a[4:7], v203, s[12:15], 0 offen        // 00000000B818: E05C1000 808304CB
	v_mfma_f32_16x16x32_fp8_fp8 v[32:35], a[46:47], v[18:19], v[32:35]// 00000000B820: D3F30020 0C82252E
	s_add_u32 s71, s71, 0x400                                  // 00000000B828: 8047FF47 00000400
	v_mfma_f32_16x16x32_fp8_fp8 v[36:39], a[48:49], v[12:13], 0// 00000000B830: D3F30024 0A021930
	v_mfma_f32_16x16x32_fp8_fp8 v[36:39], a[50:51], v[14:15], v[36:39]// 00000000B838: D3F30024 0C921D32
	v_mfma_f32_16x16x32_fp8_fp8 v[36:39], a[52:53], v[16:17], v[36:39]// 00000000B840: D3F30024 0C922134
	buffer_load_dwordx4 a[8:11], v202, s[12:15], 0 offen offset:1024// 00000000B848: E05C1400 808308CA
	v_mfma_f32_16x16x32_fp8_fp8 v[36:39], a[54:55], v[18:19], v[36:39]// 00000000B850: D3F30024 0C922536
	v_mfma_f32_16x16x32_fp8_fp8 v[40:43], a[56:57], v[12:13], 0// 00000000B858: D3F30028 0A021938
	v_mfma_f32_16x16x32_fp8_fp8 v[40:43], a[58:59], v[14:15], v[40:43]// 00000000B860: D3F30028 0CA21D3A
	v_mfma_f32_16x16x32_fp8_fp8 v[40:43], a[60:61], v[16:17], v[40:43]// 00000000B868: D3F30028 0CA2213C
	buffer_load_dwordx4 a[12:15], v203, s[12:15], 0 offen offset:1024// 00000000B870: E05C1400 80830CCB
	v_mfma_f32_16x16x32_fp8_fp8 v[40:43], a[62:63], v[18:19], v[40:43]// 00000000B878: D3F30028 0CA2253E
	v_mfma_f32_16x16x32_fp8_fp8 v[44:47], a[32:33], v[20:21], 0// 00000000B880: D3F3002C 0A022920
	v_mfma_f32_16x16x32_fp8_fp8 v[44:47], a[34:35], v[22:23], v[44:47]// 00000000B888: D3F3002C 0CB22D22
	v_mfma_f32_16x16x32_fp8_fp8 v[44:47], a[36:37], v[24:25], v[44:47]// 00000000B890: D3F3002C 0CB23124
	buffer_load_dwordx4 a[16:19], v202, s[12:15], 0 offen offset:2048// 00000000B898: E05C1800 808310CA
	v_mfma_f32_16x16x32_fp8_fp8 v[44:47], a[38:39], v[26:27], v[44:47]// 00000000B8A0: D3F3002C 0CB23526
	v_mfma_f32_16x16x32_fp8_fp8 v[48:51], a[40:41], v[20:21], 0// 00000000B8A8: D3F30030 0A022928
	v_mfma_f32_16x16x32_fp8_fp8 v[48:51], a[42:43], v[22:23], v[48:51]// 00000000B8B0: D3F30030 0CC22D2A
	v_mfma_f32_16x16x32_fp8_fp8 v[48:51], a[44:45], v[24:25], v[48:51]// 00000000B8B8: D3F30030 0CC2312C
	buffer_load_dwordx4 a[20:23], v203, s[12:15], 0 offen offset:2048// 00000000B8C0: E05C1800 808314CB
	v_mfma_f32_16x16x32_fp8_fp8 v[48:51], a[46:47], v[26:27], v[48:51]// 00000000B8C8: D3F30030 0CC2352E
	v_mfma_f32_16x16x32_fp8_fp8 v[52:55], a[48:49], v[20:21], 0// 00000000B8D0: D3F30034 0A022930
	v_mfma_f32_16x16x32_fp8_fp8 v[52:55], a[50:51], v[22:23], v[52:55]// 00000000B8D8: D3F30034 0CD22D32
	v_mfma_f32_16x16x32_fp8_fp8 v[52:55], a[52:53], v[24:25], v[52:55]// 00000000B8E0: D3F30034 0CD23134
	buffer_load_dwordx4 a[24:27], v202, s[12:15], 0 offen offset:3072// 00000000B8E8: E05C1C00 808318CA
	v_mfma_f32_16x16x32_fp8_fp8 v[52:55], a[54:55], v[26:27], v[52:55]// 00000000B8F0: D3F30034 0CD23536
	v_mfma_f32_16x16x32_fp8_fp8 v[56:59], a[56:57], v[20:21], 0// 00000000B8F8: D3F30038 0A022938
	v_mfma_f32_16x16x32_fp8_fp8 v[56:59], a[58:59], v[22:23], v[56:59]// 00000000B900: D3F30038 0CE22D3A
	v_mfma_f32_16x16x32_fp8_fp8 v[56:59], a[60:61], v[24:25], v[56:59]// 00000000B908: D3F30038 0CE2313C
	buffer_load_dwordx4 a[28:31], v203, s[12:15], 0 offen offset:3072// 00000000B910: E05C1C00 80831CCB
	v_mfma_f32_16x16x32_fp8_fp8 v[56:59], a[62:63], v[26:27], v[56:59]// 00000000B918: D3F30038 0CE2353E
	s_waitcnt vmcnt(16)                                        // 00000000B920: BF8C4F70
	v_pk_mul_f32 v[28:29], v[124:125], v[28:29]                // 00000000B924: D3B1401C 1802397C
	v_pk_mul_f32 v[30:31], v[124:125], v[30:31]                // 00000000B92C: D3B1401E 18023D7C
	v_mul_f32_dpp v28, v129, v28 row_newbcast:0 row_mask:0xf bank_mask:0xf// 00000000B934: 0A3838FA FF015081
	v_mul_f32_dpp v29, v129, v29 row_newbcast:1 row_mask:0xf bank_mask:0xf// 00000000B93C: 0A3A3AFA FF015181
	v_mul_f32_dpp v30, v129, v30 row_newbcast:2 row_mask:0xf bank_mask:0xf// 00000000B944: 0A3C3CFA FF015281
	v_mul_f32_dpp v31, v129, v31 row_newbcast:3 row_mask:0xf bank_mask:0xf// 00000000B94C: 0A3E3EFA FF015381
	v_pk_mul_f32 v[32:33], v[124:125], v[32:33]                // 00000000B954: D3B14020 1802417C
	v_pk_mul_f32 v[34:35], v[124:125], v[34:35]                // 00000000B95C: D3B14022 1802457C
	v_mul_f32_dpp v32, v129, v32 row_newbcast:4 row_mask:0xf bank_mask:0xf// 00000000B964: 0A4040FA FF015481
	v_mul_f32_dpp v33, v129, v33 row_newbcast:5 row_mask:0xf bank_mask:0xf// 00000000B96C: 0A4242FA FF015581
	v_mul_f32_dpp v34, v129, v34 row_newbcast:6 row_mask:0xf bank_mask:0xf// 00000000B974: 0A4444FA FF015681
	v_mul_f32_dpp v35, v129, v35 row_newbcast:7 row_mask:0xf bank_mask:0xf// 00000000B97C: 0A4646FA FF015781
	v_pk_mul_f32 v[36:37], v[124:125], v[36:37]                // 00000000B984: D3B14024 1802497C
	v_pk_mul_f32 v[38:39], v[124:125], v[38:39]                // 00000000B98C: D3B14026 18024D7C
	v_mul_f32_dpp v36, v129, v36 row_newbcast:8 row_mask:0xf bank_mask:0xf// 00000000B994: 0A4848FA FF015881
	v_mul_f32_dpp v37, v129, v37 row_newbcast:9 row_mask:0xf bank_mask:0xf// 00000000B99C: 0A4A4AFA FF015981
	v_mul_f32_dpp v38, v129, v38 row_newbcast:10 row_mask:0xf bank_mask:0xf// 00000000B9A4: 0A4C4CFA FF015A81
	v_mul_f32_dpp v39, v129, v39 row_newbcast:11 row_mask:0xf bank_mask:0xf// 00000000B9AC: 0A4E4EFA FF015B81
	v_pk_mul_f32 v[40:41], v[124:125], v[40:41]                // 00000000B9B4: D3B14028 1802517C
	v_pk_mul_f32 v[42:43], v[124:125], v[42:43]                // 00000000B9BC: D3B1402A 1802557C
	v_mul_f32_dpp v40, v129, v40 row_newbcast:12 row_mask:0xf bank_mask:0xf// 00000000B9C4: 0A5050FA FF015C81
	v_mul_f32_dpp v41, v129, v41 row_newbcast:13 row_mask:0xf bank_mask:0xf// 00000000B9CC: 0A5252FA FF015D81
	v_mul_f32_dpp v42, v129, v42 row_newbcast:14 row_mask:0xf bank_mask:0xf// 00000000B9D4: 0A5454FA FF015E81
	v_mul_f32_dpp v43, v129, v43 row_newbcast:15 row_mask:0xf bank_mask:0xf// 00000000B9DC: 0A5656FA FF015F81
	v_pk_mul_f32 v[44:45], v[126:127], v[44:45]                // 00000000B9E4: D3B1402C 1802597E
	v_pk_mul_f32 v[46:47], v[126:127], v[46:47]                // 00000000B9EC: D3B1402E 18025D7E
	v_mul_f32_dpp v44, v129, v44 row_newbcast:0 row_mask:0xf bank_mask:0xf// 00000000B9F4: 0A5858FA FF015081
	v_mul_f32_dpp v45, v129, v45 row_newbcast:1 row_mask:0xf bank_mask:0xf// 00000000B9FC: 0A5A5AFA FF015181
	v_mul_f32_dpp v46, v129, v46 row_newbcast:2 row_mask:0xf bank_mask:0xf// 00000000BA04: 0A5C5CFA FF015281
	v_mul_f32_dpp v47, v129, v47 row_newbcast:3 row_mask:0xf bank_mask:0xf// 00000000BA0C: 0A5E5EFA FF015381
	v_pk_mul_f32 v[48:49], v[126:127], v[48:49]                // 00000000BA14: D3B14030 1802617E
	v_pk_mul_f32 v[50:51], v[126:127], v[50:51]                // 00000000BA1C: D3B14032 1802657E
	v_mul_f32_dpp v48, v129, v48 row_newbcast:4 row_mask:0xf bank_mask:0xf// 00000000BA24: 0A6060FA FF015481
	v_mul_f32_dpp v49, v129, v49 row_newbcast:5 row_mask:0xf bank_mask:0xf// 00000000BA2C: 0A6262FA FF015581
	v_mul_f32_dpp v50, v129, v50 row_newbcast:6 row_mask:0xf bank_mask:0xf// 00000000BA34: 0A6464FA FF015681
	v_mul_f32_dpp v51, v129, v51 row_newbcast:7 row_mask:0xf bank_mask:0xf// 00000000BA3C: 0A6666FA FF015781
	v_pk_mul_f32 v[52:53], v[126:127], v[52:53]                // 00000000BA44: D3B14034 1802697E
	v_pk_mul_f32 v[54:55], v[126:127], v[54:55]                // 00000000BA4C: D3B14036 18026D7E
	v_mul_f32_dpp v52, v129, v52 row_newbcast:8 row_mask:0xf bank_mask:0xf// 00000000BA54: 0A6868FA FF015881
	v_mul_f32_dpp v53, v129, v53 row_newbcast:9 row_mask:0xf bank_mask:0xf// 00000000BA5C: 0A6A6AFA FF015981
	v_mul_f32_dpp v54, v129, v54 row_newbcast:10 row_mask:0xf bank_mask:0xf// 00000000BA64: 0A6C6CFA FF015A81
	v_mul_f32_dpp v55, v129, v55 row_newbcast:11 row_mask:0xf bank_mask:0xf// 00000000BA6C: 0A6E6EFA FF015B81
	v_pk_mul_f32 v[56:57], v[126:127], v[56:57]                // 00000000BA74: D3B14038 1802717E
	v_pk_mul_f32 v[58:59], v[126:127], v[58:59]                // 00000000BA7C: D3B1403A 1802757E
	v_mul_f32_dpp v56, v129, v56 row_newbcast:12 row_mask:0xf bank_mask:0xf// 00000000BA84: 0A7070FA FF015C81
	v_mul_f32_dpp v57, v129, v57 row_newbcast:13 row_mask:0xf bank_mask:0xf// 00000000BA8C: 0A7272FA FF015D81
	v_mul_f32_dpp v58, v129, v58 row_newbcast:14 row_mask:0xf bank_mask:0xf// 00000000BA94: 0A7474FA FF015E81
	v_mul_f32_dpp v59, v129, v59 row_newbcast:15 row_mask:0xf bank_mask:0xf// 00000000BA9C: 0A7676FA FF015F81
	v_add_u32_e32 v186, s64, v196                              // 00000000BAA4: 69758840
	v_add_u32_e32 v187, 0, v186                                // 00000000BAA8: 69777480
	v_cmp_lt_u32_e64 s[98:99], v187, v194                      // 00000000BAAC: D0C90062 000385BB
	s_nop 0                                                    // 00000000BAB4: BF800000
	v_cndmask_b32_e64 v28, v197, v28, s[98:99]                 // 00000000BAB8: D100001C 018A39C5
	v_add_u32_e32 v187, 1, v186                                // 00000000BAC0: 69777481
	v_cmp_lt_u32_e64 s[98:99], v187, v194                      // 00000000BAC4: D0C90062 000385BB
	s_nop 0                                                    // 00000000BACC: BF800000
	v_cndmask_b32_e64 v29, v197, v29, s[98:99]                 // 00000000BAD0: D100001D 018A3BC5
	v_add_u32_e32 v187, 2, v186                                // 00000000BAD8: 69777482
	v_cmp_lt_u32_e64 s[98:99], v187, v194                      // 00000000BADC: D0C90062 000385BB
	s_nop 0                                                    // 00000000BAE4: BF800000
	v_cndmask_b32_e64 v30, v197, v30, s[98:99]                 // 00000000BAE8: D100001E 018A3DC5
	v_add_u32_e32 v187, 3, v186                                // 00000000BAF0: 69777483
	v_cmp_lt_u32_e64 s[98:99], v187, v194                      // 00000000BAF4: D0C90062 000385BB
	s_nop 0                                                    // 00000000BAFC: BF800000
	v_cndmask_b32_e64 v31, v197, v31, s[98:99]                 // 00000000BB00: D100001F 018A3FC5
	v_add_u32_e32 v187, 64, v186                               // 00000000BB08: 697774C0
	v_cmp_lt_u32_e64 s[98:99], v187, v194                      // 00000000BB0C: D0C90062 000385BB
	s_nop 0                                                    // 00000000BB14: BF800000
	v_cndmask_b32_e64 v32, v197, v32, s[98:99]                 // 00000000BB18: D1000020 018A41C5
	v_add_u32_e32 v187, 0x41, v186                             // 00000000BB20: 697774FF 00000041
	v_cmp_lt_u32_e64 s[98:99], v187, v194                      // 00000000BB28: D0C90062 000385BB
	s_nop 0                                                    // 00000000BB30: BF800000
	v_cndmask_b32_e64 v33, v197, v33, s[98:99]                 // 00000000BB34: D1000021 018A43C5
	v_add_u32_e32 v187, 0x42, v186                             // 00000000BB3C: 697774FF 00000042
	v_cmp_lt_u32_e64 s[98:99], v187, v194                      // 00000000BB44: D0C90062 000385BB
	s_nop 0                                                    // 00000000BB4C: BF800000
	v_cndmask_b32_e64 v34, v197, v34, s[98:99]                 // 00000000BB50: D1000022 018A45C5
	v_add_u32_e32 v187, 0x43, v186                             // 00000000BB58: 697774FF 00000043
	v_cmp_lt_u32_e64 s[98:99], v187, v194                      // 00000000BB60: D0C90062 000385BB
	s_nop 0                                                    // 00000000BB68: BF800000
	v_cndmask_b32_e64 v35, v197, v35, s[98:99]                 // 00000000BB6C: D1000023 018A47C5
	v_add_u32_e32 v187, 0x80, v186                             // 00000000BB74: 697774FF 00000080
	v_cmp_lt_u32_e64 s[98:99], v187, v194                      // 00000000BB7C: D0C90062 000385BB
	s_nop 0                                                    // 00000000BB84: BF800000
	v_cndmask_b32_e64 v36, v197, v36, s[98:99]                 // 00000000BB88: D1000024 018A49C5
	v_add_u32_e32 v187, 0x81, v186                             // 00000000BB90: 697774FF 00000081
	v_cmp_lt_u32_e64 s[98:99], v187, v194                      // 00000000BB98: D0C90062 000385BB
	s_nop 0                                                    // 00000000BBA0: BF800000
	v_cndmask_b32_e64 v37, v197, v37, s[98:99]                 // 00000000BBA4: D1000025 018A4BC5
	v_add_u32_e32 v187, 0x82, v186                             // 00000000BBAC: 697774FF 00000082
	v_cmp_lt_u32_e64 s[98:99], v187, v194                      // 00000000BBB4: D0C90062 000385BB
	s_nop 0                                                    // 00000000BBBC: BF800000
	v_cndmask_b32_e64 v38, v197, v38, s[98:99]                 // 00000000BBC0: D1000026 018A4DC5
	v_add_u32_e32 v187, 0x83, v186                             // 00000000BBC8: 697774FF 00000083
	v_cmp_lt_u32_e64 s[98:99], v187, v194                      // 00000000BBD0: D0C90062 000385BB
	s_nop 0                                                    // 00000000BBD8: BF800000
	v_cndmask_b32_e64 v39, v197, v39, s[98:99]                 // 00000000BBDC: D1000027 018A4FC5
	v_add_u32_e32 v187, 0xc0, v186                             // 00000000BBE4: 697774FF 000000C0
	v_cmp_lt_u32_e64 s[98:99], v187, v194                      // 00000000BBEC: D0C90062 000385BB
	s_nop 0                                                    // 00000000BBF4: BF800000
	v_cndmask_b32_e64 v40, v197, v40, s[98:99]                 // 00000000BBF8: D1000028 018A51C5
	v_add_u32_e32 v187, 0xc1, v186                             // 00000000BC00: 697774FF 000000C1
	v_cmp_lt_u32_e64 s[98:99], v187, v194                      // 00000000BC08: D0C90062 000385BB
	s_nop 0                                                    // 00000000BC10: BF800000
	v_cndmask_b32_e64 v41, v197, v41, s[98:99]                 // 00000000BC14: D1000029 018A53C5
	v_add_u32_e32 v187, 0xc2, v186                             // 00000000BC1C: 697774FF 000000C2
	v_cmp_lt_u32_e64 s[98:99], v187, v194                      // 00000000BC24: D0C90062 000385BB
	s_nop 0                                                    // 00000000BC2C: BF800000
	v_cndmask_b32_e64 v42, v197, v42, s[98:99]                 // 00000000BC30: D100002A 018A55C5
	v_add_u32_e32 v187, 0xc3, v186                             // 00000000BC38: 697774FF 000000C3
	v_cmp_lt_u32_e64 s[98:99], v187, v194                      // 00000000BC40: D0C90062 000385BB
	s_nop 0                                                    // 00000000BC48: BF800000
	v_cndmask_b32_e64 v43, v197, v43, s[98:99]                 // 00000000BC4C: D100002B 018A57C5
	v_add_u32_e32 v187, 0, v186                                // 00000000BC54: 69777480
	v_cmp_lt_u32_e64 s[98:99], v187, v195                      // 00000000BC58: D0C90062 000387BB
	s_nop 0                                                    // 00000000BC60: BF800000
	v_cndmask_b32_e64 v44, v197, v44, s[98:99]                 // 00000000BC64: D100002C 018A59C5
	v_add_u32_e32 v187, 1, v186                                // 00000000BC6C: 69777481
	v_cmp_lt_u32_e64 s[98:99], v187, v195                      // 00000000BC70: D0C90062 000387BB
	s_nop 0                                                    // 00000000BC78: BF800000
	v_cndmask_b32_e64 v45, v197, v45, s[98:99]                 // 00000000BC7C: D100002D 018A5BC5
	v_add_u32_e32 v187, 2, v186                                // 00000000BC84: 69777482
	v_cmp_lt_u32_e64 s[98:99], v187, v195                      // 00000000BC88: D0C90062 000387BB
	s_nop 0                                                    // 00000000BC90: BF800000
	v_cndmask_b32_e64 v46, v197, v46, s[98:99]                 // 00000000BC94: D100002E 018A5DC5
	v_add_u32_e32 v187, 3, v186                                // 00000000BC9C: 69777483
	v_cmp_lt_u32_e64 s[98:99], v187, v195                      // 00000000BCA0: D0C90062 000387BB
	s_nop 0                                                    // 00000000BCA8: BF800000
	v_cndmask_b32_e64 v47, v197, v47, s[98:99]                 // 00000000BCAC: D100002F 018A5FC5
	v_add_u32_e32 v187, 64, v186                               // 00000000BCB4: 697774C0
	v_cmp_lt_u32_e64 s[98:99], v187, v195                      // 00000000BCB8: D0C90062 000387BB
	s_nop 0                                                    // 00000000BCC0: BF800000
	v_cndmask_b32_e64 v48, v197, v48, s[98:99]                 // 00000000BCC4: D1000030 018A61C5
	v_add_u32_e32 v187, 0x41, v186                             // 00000000BCCC: 697774FF 00000041
	v_cmp_lt_u32_e64 s[98:99], v187, v195                      // 00000000BCD4: D0C90062 000387BB
	s_nop 0                                                    // 00000000BCDC: BF800000
	v_cndmask_b32_e64 v49, v197, v49, s[98:99]                 // 00000000BCE0: D1000031 018A63C5
	v_add_u32_e32 v187, 0x42, v186                             // 00000000BCE8: 697774FF 00000042
	v_cmp_lt_u32_e64 s[98:99], v187, v195                      // 00000000BCF0: D0C90062 000387BB
	s_nop 0                                                    // 00000000BCF8: BF800000
	v_cndmask_b32_e64 v50, v197, v50, s[98:99]                 // 00000000BCFC: D1000032 018A65C5
	v_add_u32_e32 v187, 0x43, v186                             // 00000000BD04: 697774FF 00000043
	v_cmp_lt_u32_e64 s[98:99], v187, v195                      // 00000000BD0C: D0C90062 000387BB
	s_nop 0                                                    // 00000000BD14: BF800000
	v_cndmask_b32_e64 v51, v197, v51, s[98:99]                 // 00000000BD18: D1000033 018A67C5
	v_add_u32_e32 v187, 0x80, v186                             // 00000000BD20: 697774FF 00000080
	v_cmp_lt_u32_e64 s[98:99], v187, v195                      // 00000000BD28: D0C90062 000387BB
	s_nop 0                                                    // 00000000BD30: BF800000
	v_cndmask_b32_e64 v52, v197, v52, s[98:99]                 // 00000000BD34: D1000034 018A69C5
	v_add_u32_e32 v187, 0x81, v186                             // 00000000BD3C: 697774FF 00000081
	v_cmp_lt_u32_e64 s[98:99], v187, v195                      // 00000000BD44: D0C90062 000387BB
	s_nop 0                                                    // 00000000BD4C: BF800000
	v_cndmask_b32_e64 v53, v197, v53, s[98:99]                 // 00000000BD50: D1000035 018A6BC5
	v_add_u32_e32 v187, 0x82, v186                             // 00000000BD58: 697774FF 00000082
	v_cmp_lt_u32_e64 s[98:99], v187, v195                      // 00000000BD60: D0C90062 000387BB
	s_nop 0                                                    // 00000000BD68: BF800000
	v_cndmask_b32_e64 v54, v197, v54, s[98:99]                 // 00000000BD6C: D1000036 018A6DC5
	v_add_u32_e32 v187, 0x83, v186                             // 00000000BD74: 697774FF 00000083
	v_cmp_lt_u32_e64 s[98:99], v187, v195                      // 00000000BD7C: D0C90062 000387BB
	s_nop 0                                                    // 00000000BD84: BF800000
	v_cndmask_b32_e64 v55, v197, v55, s[98:99]                 // 00000000BD88: D1000037 018A6FC5
	v_add_u32_e32 v187, 0xc0, v186                             // 00000000BD90: 697774FF 000000C0
	v_cmp_lt_u32_e64 s[98:99], v187, v195                      // 00000000BD98: D0C90062 000387BB
	s_nop 0                                                    // 00000000BDA0: BF800000
	v_cndmask_b32_e64 v56, v197, v56, s[98:99]                 // 00000000BDA4: D1000038 018A71C5
	v_add_u32_e32 v187, 0xc1, v186                             // 00000000BDAC: 697774FF 000000C1
	v_cmp_lt_u32_e64 s[98:99], v187, v195                      // 00000000BDB4: D0C90062 000387BB
	s_nop 0                                                    // 00000000BDBC: BF800000
	v_cndmask_b32_e64 v57, v197, v57, s[98:99]                 // 00000000BDC0: D1000039 018A73C5
	v_add_u32_e32 v187, 0xc2, v186                             // 00000000BDC8: 697774FF 000000C2
	v_cmp_lt_u32_e64 s[98:99], v187, v195                      // 00000000BDD0: D0C90062 000387BB
	s_nop 0                                                    // 00000000BDD8: BF800000
	v_cndmask_b32_e64 v58, v197, v58, s[98:99]                 // 00000000BDDC: D100003A 018A75C5
	v_add_u32_e32 v187, 0xc3, v186                             // 00000000BDE4: 697774FF 000000C3
	v_cmp_lt_u32_e64 s[98:99], v187, v195                      // 00000000BDEC: D0C90062 000387BB
	s_nop 0                                                    // 00000000BDF4: BF800000
	v_cndmask_b32_e64 v59, v197, v59, s[98:99]                 // 00000000BDF8: D100003B 018A77C5
	v_mov_b32_e32 v150, v28                                    // 00000000BE00: 7F2C031C
	v_max3_f32 v150, v28, v29, v150                            // 00000000BE04: D1D30096 065A3B1C
	v_max3_f32 v150, v30, v31, v150                            // 00000000BE0C: D1D30096 065A3F1E
	v_max3_f32 v150, v32, v33, v150                            // 00000000BE14: D1D30096 065A4320
	v_max3_f32 v150, v34, v35, v150                            // 00000000BE1C: D1D30096 065A4722
	v_max3_f32 v150, v36, v37, v150                            // 00000000BE24: D1D30096 065A4B24
	v_max3_f32 v150, v38, v39, v150                            // 00000000BE2C: D1D30096 065A4F26
	v_max3_f32 v150, v40, v41, v150                            // 00000000BE34: D1D30096 065A5328
	v_max3_f32 v150, v42, v43, v150                            // 00000000BE3C: D1D30096 065A572A
	v_mov_b32_e32 v151, v44                                    // 00000000BE44: 7F2E032C
	v_max3_f32 v151, v44, v45, v151                            // 00000000BE48: D1D30097 065E5B2C
	v_max3_f32 v151, v46, v47, v151                            // 00000000BE50: D1D30097 065E5F2E
	v_max3_f32 v151, v48, v49, v151                            // 00000000BE58: D1D30097 065E6330
	v_max3_f32 v151, v50, v51, v151                            // 00000000BE60: D1D30097 065E6732
	v_max3_f32 v151, v52, v53, v151                            // 00000000BE68: D1D30097 065E6B34
	v_max3_f32 v151, v54, v55, v151                            // 00000000BE70: D1D30097 065E6F36
	v_max3_f32 v151, v56, v57, v151                            // 00000000BE78: D1D30097 065E7338
	v_max3_f32 v151, v58, v59, v151                            // 00000000BE80: D1D30097 065E773A
	ds_write_b64 v220, v[150:151]                              // 00000000BE88: D89A0000 000096DC
	v_pk_mul_f32 v[108:109], v[142:143], v[108:109]            // 00000000BE90: D3B1406C 1802D98E
	v_pk_mul_f32 v[110:111], v[142:143], v[110:111]            // 00000000BE98: D3B1406E 1802DD8E
	v_pk_mul_f32 v[112:113], v[142:143], v[112:113]            // 00000000BEA0: D3B14070 1802E18E
	v_pk_mul_f32 v[114:115], v[142:143], v[114:115]            // 00000000BEA8: D3B14072 1802E58E
	v_pk_mul_f32 v[116:117], v[144:145], v[116:117]            // 00000000BEB0: D3B14074 1802E990
	v_pk_mul_f32 v[118:119], v[144:145], v[118:119]            // 00000000BEB8: D3B14076 1802ED90
	v_pk_mul_f32 v[120:121], v[144:145], v[120:121]            // 00000000BEC0: D3B14078 1802F190
	v_pk_mul_f32 v[122:123], v[144:145], v[122:123]            // 00000000BEC8: D3B1407A 1802F590
	s_waitcnt lgkmcnt(0)                                       // 00000000BED0: BF8CC07F
	s_barrier                                                  // 00000000BED4: BF8A0000
	ds_read_b64 v[154:155], v221                               // 00000000BED8: D8EC0000 9A0000DD
	ds_read_b64 v[156:157], v221 offset:128                    // 00000000BEE0: D8EC0080 9C0000DD
	ds_read_b64 v[158:159], v221 offset:256                    // 00000000BEE8: D8EC0100 9E0000DD
	ds_read_b64 v[160:161], v221 offset:384                    // 00000000BEF0: D8EC0180 A00000DD
	ds_read_b64 v[162:163], v221 offset:512                    // 00000000BEF8: D8EC0200 A20000DD
	ds_read_b64 v[164:165], v221 offset:640                    // 00000000BF00: D8EC0280 A40000DD
	ds_read_b64 v[166:167], v221 offset:768                    // 00000000BF08: D8EC0300 A60000DD
	ds_read_b64 v[168:169], v221 offset:896                    // 00000000BF10: D8EC0380 A80000DD
	ds_read_b64 v[170:171], v221 offset:1024                   // 00000000BF18: D8EC0400 AA0000DD
	ds_read_b64 v[172:173], v221 offset:1152                   // 00000000BF20: D8EC0480 AC0000DD
	ds_read_b64 v[174:175], v221 offset:1280                   // 00000000BF28: D8EC0500 AE0000DD
	ds_read_b64 v[176:177], v221 offset:1408                   // 00000000BF30: D8EC0580 B00000DD
	ds_read_b64 v[178:179], v221 offset:1536                   // 00000000BF38: D8EC0600 B20000DD
	ds_read_b64 v[180:181], v221 offset:1664                   // 00000000BF40: D8EC0680 B40000DD
	ds_read_b64 v[182:183], v221 offset:1792                   // 00000000BF48: D8EC0700 B60000DD
	ds_read_b64 v[184:185], v221 offset:1920                   // 00000000BF50: D8EC0780 B80000DD
	v_pk_mul_f32 v[92:93], v[132:133], v[92:93]                // 00000000BF58: D3B1405C 1802B984
	v_pk_mul_f32 v[94:95], v[132:133], v[94:95]                // 00000000BF60: D3B1405E 1802BD84
	v_pk_mul_f32 v[96:97], v[132:133], v[96:97]                // 00000000BF68: D3B14060 1802C184
	v_pk_mul_f32 v[98:99], v[132:133], v[98:99]                // 00000000BF70: D3B14062 1802C584
	v_pk_mul_f32 v[100:101], v[134:135], v[100:101]            // 00000000BF78: D3B14064 1802C986
	v_pk_mul_f32 v[102:103], v[134:135], v[102:103]            // 00000000BF80: D3B14066 1802CD86
	v_pk_mul_f32 v[104:105], v[134:135], v[104:105]            // 00000000BF88: D3B14068 1802D186
	v_pk_mul_f32 v[106:107], v[134:135], v[106:107]            // 00000000BF90: D3B1406A 1802D586
	s_waitcnt lgkmcnt(0)                                       // 00000000BF98: BF8CC07F
	v_max3_f32 v150, v154, v156, v150                          // 00000000BF9C: D1D30096 065B399A
	v_max3_f32 v151, v155, v157, v151                          // 00000000BFA4: D1D30097 065F3B9B
	v_max3_f32 v150, v158, v160, v150                          // 00000000BFAC: D1D30096 065B419E
	v_max3_f32 v151, v159, v161, v151                          // 00000000BFB4: D1D30097 065F439F
	v_max3_f32 v150, v162, v164, v150                          // 00000000BFBC: D1D30096 065B49A2
	v_max3_f32 v151, v163, v165, v151                          // 00000000BFC4: D1D30097 065F4BA3
	v_max3_f32 v150, v166, v168, v150                          // 00000000BFCC: D1D30096 065B51A6
	v_max3_f32 v151, v167, v169, v151                          // 00000000BFD4: D1D30097 065F53A7
	v_max3_f32 v150, v170, v172, v150                          // 00000000BFDC: D1D30096 065B59AA
	v_max3_f32 v151, v171, v173, v151                          // 00000000BFE4: D1D30097 065F5BAB
	v_max3_f32 v150, v174, v176, v150                          // 00000000BFEC: D1D30096 065B61AE
	v_max3_f32 v151, v175, v177, v151                          // 00000000BFF4: D1D30097 065F63AF
	v_max3_f32 v150, v178, v180, v150                          // 00000000BFFC: D1D30096 065B69B2
	v_max3_f32 v151, v179, v181, v151                          // 00000000C004: D1D30097 065F6BB3
	v_max3_f32 v150, v182, v184, v150                          // 00000000C00C: D1D30096 065B71B6
	v_max3_f32 v151, v183, v185, v151                          // 00000000C014: D1D30097 065F73B7
	v_max_f32_e32 v140, v150, v138                             // 00000000C01C: 17191596
	v_mul_f32_e64 v186, -s46, v140                             // 00000000C020: D10500BA 2003182E
	v_mov_b32_e32 v187, v186                                   // 00000000C028: 7F7603BA
	v_pk_fma_f32 v[28:29], v[28:29], s[46:47], v[186:187]      // 00000000C02C: D3B0401C 1EE85D1C
	v_pk_fma_f32 v[30:31], v[30:31], s[46:47], v[186:187]      // 00000000C034: D3B0401E 1EE85D1E
	v_exp_f32_e32 v28, v28                                     // 00000000C03C: 7E38411C
	v_exp_f32_e32 v29, v29                                     // 00000000C040: 7E3A411D
	v_exp_f32_e32 v30, v30                                     // 00000000C044: 7E3C411E
	v_exp_f32_e32 v31, v31                                     // 00000000C048: 7E3E411F
	v_pk_fma_f32 v[32:33], v[32:33], s[46:47], v[186:187]      // 00000000C04C: D3B04020 1EE85D20
	v_pk_fma_f32 v[34:35], v[34:35], s[46:47], v[186:187]      // 00000000C054: D3B04022 1EE85D22
	v_exp_f32_e32 v32, v32                                     // 00000000C05C: 7E404120
	v_exp_f32_e32 v33, v33                                     // 00000000C060: 7E424121
	v_exp_f32_e32 v34, v34                                     // 00000000C064: 7E444122
	v_exp_f32_e32 v35, v35                                     // 00000000C068: 7E464123
	v_pk_fma_f32 v[36:37], v[36:37], s[46:47], v[186:187]      // 00000000C06C: D3B04024 1EE85D24
	v_pk_fma_f32 v[38:39], v[38:39], s[46:47], v[186:187]      // 00000000C074: D3B04026 1EE85D26
	v_exp_f32_e32 v36, v36                                     // 00000000C07C: 7E484124
	v_exp_f32_e32 v37, v37                                     // 00000000C080: 7E4A4125
	v_exp_f32_e32 v38, v38                                     // 00000000C084: 7E4C4126
	v_exp_f32_e32 v39, v39                                     // 00000000C088: 7E4E4127
	v_pk_fma_f32 v[40:41], v[40:41], s[46:47], v[186:187]      // 00000000C08C: D3B04028 1EE85D28
	v_pk_fma_f32 v[42:43], v[42:43], s[46:47], v[186:187]      // 00000000C094: D3B0402A 1EE85D2A
	v_exp_f32_e32 v40, v40                                     // 00000000C09C: 7E504128
	v_exp_f32_e32 v41, v41                                     // 00000000C0A0: 7E524129
	v_exp_f32_e32 v42, v42                                     // 00000000C0A4: 7E54412A
	v_exp_f32_e32 v43, v43                                     // 00000000C0A8: 7E56412B
	v_max_f32_e32 v141, v151, v139                             // 00000000C0AC: 171B1797
	v_mul_f32_e64 v186, -s46, v141                             // 00000000C0B0: D10500BA 20031A2E
	v_mov_b32_e32 v187, v186                                   // 00000000C0B8: 7F7603BA
	v_pk_fma_f32 v[44:45], v[44:45], s[46:47], v[186:187]      // 00000000C0BC: D3B0402C 1EE85D2C
	v_pk_fma_f32 v[46:47], v[46:47], s[46:47], v[186:187]      // 00000000C0C4: D3B0402E 1EE85D2E
	v_exp_f32_e32 v44, v44                                     // 00000000C0CC: 7E58412C
	v_exp_f32_e32 v45, v45                                     // 00000000C0D0: 7E5A412D
	v_exp_f32_e32 v46, v46                                     // 00000000C0D4: 7E5C412E
	v_exp_f32_e32 v47, v47                                     // 00000000C0D8: 7E5E412F
	v_pk_fma_f32 v[48:49], v[48:49], s[46:47], v[186:187]      // 00000000C0DC: D3B04030 1EE85D30
	v_pk_fma_f32 v[50:51], v[50:51], s[46:47], v[186:187]      // 00000000C0E4: D3B04032 1EE85D32
	v_exp_f32_e32 v48, v48                                     // 00000000C0EC: 7E604130
	v_exp_f32_e32 v49, v49                                     // 00000000C0F0: 7E624131
	v_exp_f32_e32 v50, v50                                     // 00000000C0F4: 7E644132
	v_exp_f32_e32 v51, v51                                     // 00000000C0F8: 7E664133
	v_pk_fma_f32 v[52:53], v[52:53], s[46:47], v[186:187]      // 00000000C0FC: D3B04034 1EE85D34
	v_pk_fma_f32 v[54:55], v[54:55], s[46:47], v[186:187]      // 00000000C104: D3B04036 1EE85D36
	v_exp_f32_e32 v52, v52                                     // 00000000C10C: 7E684134
	v_exp_f32_e32 v53, v53                                     // 00000000C110: 7E6A4135
	v_exp_f32_e32 v54, v54                                     // 00000000C114: 7E6C4136
	v_exp_f32_e32 v55, v55                                     // 00000000C118: 7E6E4137
	v_pk_fma_f32 v[56:57], v[56:57], s[46:47], v[186:187]      // 00000000C11C: D3B04038 1EE85D38
	v_pk_fma_f32 v[58:59], v[58:59], s[46:47], v[186:187]      // 00000000C124: D3B0403A 1EE85D3A
	v_exp_f32_e32 v56, v56                                     // 00000000C12C: 7E704138
	v_exp_f32_e32 v57, v57                                     // 00000000C130: 7E724139
	v_exp_f32_e32 v58, v58                                     // 00000000C134: 7E74413A
	v_exp_f32_e32 v59, v59                                     // 00000000C138: 7E76413B
	v_mul_f32_dpp v60, v131, v28 row_newbcast:0 row_mask:0xf bank_mask:0xf// 00000000C13C: 0A7838FA FF015083
	v_mul_f32_dpp v61, v131, v29 row_newbcast:1 row_mask:0xf bank_mask:0xf// 00000000C144: 0A7A3AFA FF015183
	v_mul_f32_dpp v62, v131, v30 row_newbcast:2 row_mask:0xf bank_mask:0xf// 00000000C14C: 0A7C3CFA FF015283
	v_mul_f32_dpp v63, v131, v31 row_newbcast:3 row_mask:0xf bank_mask:0xf// 00000000C154: 0A7E3EFA FF015383
	v_mul_f32_dpp v64, v131, v32 row_newbcast:4 row_mask:0xf bank_mask:0xf// 00000000C15C: 0A8040FA FF015483
	v_mul_f32_dpp v65, v131, v33 row_newbcast:5 row_mask:0xf bank_mask:0xf// 00000000C164: 0A8242FA FF015583
	v_mul_f32_dpp v66, v131, v34 row_newbcast:6 row_mask:0xf bank_mask:0xf// 00000000C16C: 0A8444FA FF015683
	v_mul_f32_dpp v67, v131, v35 row_newbcast:7 row_mask:0xf bank_mask:0xf// 00000000C174: 0A8646FA FF015783
	v_mul_f32_dpp v68, v131, v36 row_newbcast:8 row_mask:0xf bank_mask:0xf// 00000000C17C: 0A8848FA FF015883
	v_mul_f32_dpp v69, v131, v37 row_newbcast:9 row_mask:0xf bank_mask:0xf// 00000000C184: 0A8A4AFA FF015983
	v_mul_f32_dpp v70, v131, v38 row_newbcast:10 row_mask:0xf bank_mask:0xf// 00000000C18C: 0A8C4CFA FF015A83
	v_mul_f32_dpp v71, v131, v39 row_newbcast:11 row_mask:0xf bank_mask:0xf// 00000000C194: 0A8E4EFA FF015B83
	v_mul_f32_dpp v72, v131, v40 row_newbcast:12 row_mask:0xf bank_mask:0xf// 00000000C19C: 0A9050FA FF015C83
	v_mul_f32_dpp v73, v131, v41 row_newbcast:13 row_mask:0xf bank_mask:0xf// 00000000C1A4: 0A9252FA FF015D83
	v_mul_f32_dpp v74, v131, v42 row_newbcast:14 row_mask:0xf bank_mask:0xf// 00000000C1AC: 0A9454FA FF015E83
	v_mul_f32_dpp v75, v131, v43 row_newbcast:15 row_mask:0xf bank_mask:0xf// 00000000C1B4: 0A9656FA FF015F83
	v_mul_f32_dpp v76, v131, v44 row_newbcast:0 row_mask:0xf bank_mask:0xf// 00000000C1BC: 0A9858FA FF015083
	v_mul_f32_dpp v77, v131, v45 row_newbcast:1 row_mask:0xf bank_mask:0xf// 00000000C1C4: 0A9A5AFA FF015183
	v_mul_f32_dpp v78, v131, v46 row_newbcast:2 row_mask:0xf bank_mask:0xf// 00000000C1CC: 0A9C5CFA FF015283
	v_mul_f32_dpp v79, v131, v47 row_newbcast:3 row_mask:0xf bank_mask:0xf// 00000000C1D4: 0A9E5EFA FF015383
	v_mul_f32_dpp v80, v131, v48 row_newbcast:4 row_mask:0xf bank_mask:0xf// 00000000C1DC: 0AA060FA FF015483
	v_mul_f32_dpp v81, v131, v49 row_newbcast:5 row_mask:0xf bank_mask:0xf// 00000000C1E4: 0AA262FA FF015583
	v_mul_f32_dpp v82, v131, v50 row_newbcast:6 row_mask:0xf bank_mask:0xf// 00000000C1EC: 0AA464FA FF015683
	v_mul_f32_dpp v83, v131, v51 row_newbcast:7 row_mask:0xf bank_mask:0xf// 00000000C1F4: 0AA666FA FF015783
	v_mul_f32_dpp v84, v131, v52 row_newbcast:8 row_mask:0xf bank_mask:0xf// 00000000C1FC: 0AA868FA FF015883
	v_mul_f32_dpp v85, v131, v53 row_newbcast:9 row_mask:0xf bank_mask:0xf// 00000000C204: 0AAA6AFA FF015983
	v_mul_f32_dpp v86, v131, v54 row_newbcast:10 row_mask:0xf bank_mask:0xf// 00000000C20C: 0AAC6CFA FF015A83
	v_mul_f32_dpp v87, v131, v55 row_newbcast:11 row_mask:0xf bank_mask:0xf// 00000000C214: 0AAE6EFA FF015B83
	v_mul_f32_dpp v88, v131, v56 row_newbcast:12 row_mask:0xf bank_mask:0xf// 00000000C21C: 0AB070FA FF015C83
	v_mul_f32_dpp v89, v131, v57 row_newbcast:13 row_mask:0xf bank_mask:0xf// 00000000C224: 0AB272FA FF015D83
	v_mul_f32_dpp v90, v131, v58 row_newbcast:14 row_mask:0xf bank_mask:0xf// 00000000C22C: 0AB474FA FF015E83
	v_mul_f32_dpp v91, v131, v59 row_newbcast:15 row_mask:0xf bank_mask:0xf// 00000000C234: 0AB676FA FF015F83
	v_add_u32_e32 v186, s64, v196                              // 00000000C23C: 69758840
	v_add_u32_e32 v187, 0, v186                                // 00000000C240: 69777480
	v_cmp_lt_u32_e32 vcc, v187, v194                           // 00000000C244: 7D9385BB
	v_cndmask_b32_e32 v60, 0, v60, vcc                         // 00000000C248: 00787880
	v_cmp_lt_u32_e32 vcc, v187, v195                           // 00000000C24C: 7D9387BB
	v_cndmask_b32_e32 v76, 0, v76, vcc                         // 00000000C250: 00989880
	v_add_u32_e32 v187, 1, v186                                // 00000000C254: 69777481
	v_cmp_lt_u32_e32 vcc, v187, v194                           // 00000000C258: 7D9385BB
	v_cndmask_b32_e32 v61, 0, v61, vcc                         // 00000000C25C: 007A7A80
	v_cmp_lt_u32_e32 vcc, v187, v195                           // 00000000C260: 7D9387BB
	v_cndmask_b32_e32 v77, 0, v77, vcc                         // 00000000C264: 009A9A80
	v_add_u32_e32 v187, 2, v186                                // 00000000C268: 69777482
	v_cmp_lt_u32_e32 vcc, v187, v194                           // 00000000C26C: 7D9385BB
	v_cndmask_b32_e32 v62, 0, v62, vcc                         // 00000000C270: 007C7C80
	v_cmp_lt_u32_e32 vcc, v187, v195                           // 00000000C274: 7D9387BB
	v_cndmask_b32_e32 v78, 0, v78, vcc                         // 00000000C278: 009C9C80
	v_add_u32_e32 v187, 3, v186                                // 00000000C27C: 69777483
	v_cmp_lt_u32_e32 vcc, v187, v194                           // 00000000C280: 7D9385BB
	v_cndmask_b32_e32 v63, 0, v63, vcc                         // 00000000C284: 007E7E80
	v_cmp_lt_u32_e32 vcc, v187, v195                           // 00000000C288: 7D9387BB
	v_cndmask_b32_e32 v79, 0, v79, vcc                         // 00000000C28C: 009E9E80
	v_add_u32_e32 v187, 64, v186                               // 00000000C290: 697774C0
	v_cmp_lt_u32_e32 vcc, v187, v194                           // 00000000C294: 7D9385BB
	v_cndmask_b32_e32 v64, 0, v64, vcc                         // 00000000C298: 00808080
	v_cmp_lt_u32_e32 vcc, v187, v195                           // 00000000C29C: 7D9387BB
	v_cndmask_b32_e32 v80, 0, v80, vcc                         // 00000000C2A0: 00A0A080
	v_add_u32_e32 v187, 0x41, v186                             // 00000000C2A4: 697774FF 00000041
	v_cmp_lt_u32_e32 vcc, v187, v194                           // 00000000C2AC: 7D9385BB
	v_cndmask_b32_e32 v65, 0, v65, vcc                         // 00000000C2B0: 00828280
	v_cmp_lt_u32_e32 vcc, v187, v195                           // 00000000C2B4: 7D9387BB
	v_cndmask_b32_e32 v81, 0, v81, vcc                         // 00000000C2B8: 00A2A280
	v_add_u32_e32 v187, 0x42, v186                             // 00000000C2BC: 697774FF 00000042
	v_cmp_lt_u32_e32 vcc, v187, v194                           // 00000000C2C4: 7D9385BB
	v_cndmask_b32_e32 v66, 0, v66, vcc                         // 00000000C2C8: 00848480
	v_cmp_lt_u32_e32 vcc, v187, v195                           // 00000000C2CC: 7D9387BB
	v_cndmask_b32_e32 v82, 0, v82, vcc                         // 00000000C2D0: 00A4A480
	v_add_u32_e32 v187, 0x43, v186                             // 00000000C2D4: 697774FF 00000043
	v_cmp_lt_u32_e32 vcc, v187, v194                           // 00000000C2DC: 7D9385BB
	v_cndmask_b32_e32 v67, 0, v67, vcc                         // 00000000C2E0: 00868680
	v_cmp_lt_u32_e32 vcc, v187, v195                           // 00000000C2E4: 7D9387BB
	v_cndmask_b32_e32 v83, 0, v83, vcc                         // 00000000C2E8: 00A6A680
	v_add_u32_e32 v187, 0x80, v186                             // 00000000C2EC: 697774FF 00000080
	v_cmp_lt_u32_e32 vcc, v187, v194                           // 00000000C2F4: 7D9385BB
	v_cndmask_b32_e32 v68, 0, v68, vcc                         // 00000000C2F8: 00888880
	v_cmp_lt_u32_e32 vcc, v187, v195                           // 00000000C2FC: 7D9387BB
	v_cndmask_b32_e32 v84, 0, v84, vcc                         // 00000000C300: 00A8A880
	v_add_u32_e32 v187, 0x81, v186                             // 00000000C304: 697774FF 00000081
	v_cmp_lt_u32_e32 vcc, v187, v194                           // 00000000C30C: 7D9385BB
	v_cndmask_b32_e32 v69, 0, v69, vcc                         // 00000000C310: 008A8A80
	v_cmp_lt_u32_e32 vcc, v187, v195                           // 00000000C314: 7D9387BB
	v_cndmask_b32_e32 v85, 0, v85, vcc                         // 00000000C318: 00AAAA80
	v_add_u32_e32 v187, 0x82, v186                             // 00000000C31C: 697774FF 00000082
	v_cmp_lt_u32_e32 vcc, v187, v194                           // 00000000C324: 7D9385BB
	v_cndmask_b32_e32 v70, 0, v70, vcc                         // 00000000C328: 008C8C80
	v_cmp_lt_u32_e32 vcc, v187, v195                           // 00000000C32C: 7D9387BB
	v_cndmask_b32_e32 v86, 0, v86, vcc                         // 00000000C330: 00ACAC80
	v_add_u32_e32 v187, 0x83, v186                             // 00000000C334: 697774FF 00000083
	v_cmp_lt_u32_e32 vcc, v187, v194                           // 00000000C33C: 7D9385BB
	v_cndmask_b32_e32 v71, 0, v71, vcc                         // 00000000C340: 008E8E80
	v_cmp_lt_u32_e32 vcc, v187, v195                           // 00000000C344: 7D9387BB
	v_cndmask_b32_e32 v87, 0, v87, vcc                         // 00000000C348: 00AEAE80
	v_add_u32_e32 v187, 0xc0, v186                             // 00000000C34C: 697774FF 000000C0
	v_cmp_lt_u32_e32 vcc, v187, v194                           // 00000000C354: 7D9385BB
	v_cndmask_b32_e32 v72, 0, v72, vcc                         // 00000000C358: 00909080
	v_cmp_lt_u32_e32 vcc, v187, v195                           // 00000000C35C: 7D9387BB
	v_cndmask_b32_e32 v88, 0, v88, vcc                         // 00000000C360: 00B0B080
	v_add_u32_e32 v187, 0xc1, v186                             // 00000000C364: 697774FF 000000C1
	v_cmp_lt_u32_e32 vcc, v187, v194                           // 00000000C36C: 7D9385BB
	v_cndmask_b32_e32 v73, 0, v73, vcc                         // 00000000C370: 00929280
	v_cmp_lt_u32_e32 vcc, v187, v195                           // 00000000C374: 7D9387BB
	v_cndmask_b32_e32 v89, 0, v89, vcc                         // 00000000C378: 00B2B280
	v_add_u32_e32 v187, 0xc2, v186                             // 00000000C37C: 697774FF 000000C2
	v_cmp_lt_u32_e32 vcc, v187, v194                           // 00000000C384: 7D9385BB
	v_cndmask_b32_e32 v74, 0, v74, vcc                         // 00000000C388: 00949480
	v_cmp_lt_u32_e32 vcc, v187, v195                           // 00000000C38C: 7D9387BB
	v_cndmask_b32_e32 v90, 0, v90, vcc                         // 00000000C390: 00B4B480
	v_add_u32_e32 v187, 0xc3, v186                             // 00000000C394: 697774FF 000000C3
	v_cmp_lt_u32_e32 vcc, v187, v194                           // 00000000C39C: 7D9385BB
	v_cndmask_b32_e32 v75, 0, v75, vcc                         // 00000000C3A0: 00969680
	v_cmp_lt_u32_e32 vcc, v187, v195                           // 00000000C3A4: 7D9387BB
	v_cndmask_b32_e32 v91, 0, v91, vcc                         // 00000000C3A8: 00B6B680
	v_mov_b32_e32 v150, 0x358637bd                             // 00000000C3AC: 7F2C02FF 358637BD
	v_max3_f32 v150, |v60|, |v61|, v150                        // 00000000C3B4: D1D30396 065A7B3C
	v_max3_f32 v150, |v62|, |v63|, v150                        // 00000000C3BC: D1D30396 065A7F3E
	v_max3_f32 v150, |v64|, |v65|, v150                        // 00000000C3C4: D1D30396 065A8340
	v_max3_f32 v150, |v66|, |v67|, v150                        // 00000000C3CC: D1D30396 065A8742
	v_max3_f32 v150, |v68|, |v69|, v150                        // 00000000C3D4: D1D30396 065A8B44
	v_max3_f32 v150, |v70|, |v71|, v150                        // 00000000C3DC: D1D30396 065A8F46
	v_max3_f32 v150, |v72|, |v73|, v150                        // 00000000C3E4: D1D30396 065A9348
	v_max3_f32 v150, |v74|, |v75|, v150                        // 00000000C3EC: D1D30396 065A974A
	v_mov_b32_e32 v151, 0x358637bd                             // 00000000C3F4: 7F2E02FF 358637BD
	v_max3_f32 v151, |v76|, |v77|, v151                        // 00000000C3FC: D1D30397 065E9B4C
	v_max3_f32 v151, |v78|, |v79|, v151                        // 00000000C404: D1D30397 065E9F4E
	v_max3_f32 v151, |v80|, |v81|, v151                        // 00000000C40C: D1D30397 065EA350
	v_max3_f32 v151, |v82|, |v83|, v151                        // 00000000C414: D1D30397 065EA752
	v_max3_f32 v151, |v84|, |v85|, v151                        // 00000000C41C: D1D30397 065EAB54
	v_max3_f32 v151, |v86|, |v87|, v151                        // 00000000C424: D1D30397 065EAF56
	v_max3_f32 v151, |v88|, |v89|, v151                        // 00000000C42C: D1D30397 065EB358
	v_max3_f32 v151, |v90|, |v91|, v151                        // 00000000C434: D1D30397 065EB75A
	ds_write_b64 v220, v[150:151] offset:2304                  // 00000000C43C: D89A0900 000096DC
	buffer_load_dword v128, v208, s[20:23], 0 offen            // 00000000C444: E0501000 800580D0
	v_sub_f32_e32 v142, v138, v140                             // 00000000C44C: 051D198A
	v_cmp_eq_u32_e64 s[98:99], v197, v138                      // 00000000C450: D0CA0062 000315C5
	v_cndmask_b32_e64 v142, v142, 0, s[98:99]                  // 00000000C458: D100008E 0189018E
	v_mov_b32_e32 v138, v140                                   // 00000000C460: 7F14038C
	v_mul_f32_e32 v142, s46, v142                              // 00000000C464: 0B1D1C2E
	v_exp_f32_e32 v142, v142                                   // 00000000C468: 7F1C418E
	v_sub_f32_e32 v144, v139, v141                             // 00000000C46C: 05211B8B
	v_cmp_eq_u32_e64 s[98:99], v197, v139                      // 00000000C470: D0CA0062 000317C5
	v_cndmask_b32_e64 v144, v144, 0, s[98:99]                  // 00000000C478: D1000090 01890190
	v_mov_b32_e32 v139, v141                                   // 00000000C480: 7F16038D
	v_mul_f32_e32 v144, s46, v144                              // 00000000C484: 0B21202E
	v_exp_f32_e32 v144, v144                                   // 00000000C488: 7F204190
	v_mov_b32_e32 v143, v142                                   // 00000000C48C: 7F1E038E
	v_mov_b32_e32 v145, v144                                   // 00000000C490: 7F220390
	buffer_load_dword v130, v209, s[24:27], 0 offen            // 00000000C494: E0501000 800682D1
	s_waitcnt lgkmcnt(0)                                       // 00000000C49C: BF8CC07F
	s_barrier                                                  // 00000000C4A0: BF8A0000
	ds_read_b64 v[154:155], v221 offset:2304                   // 00000000C4A4: D8EC0900 9A0000DD
	ds_read_b64 v[156:157], v221 offset:2432                   // 00000000C4AC: D8EC0980 9C0000DD
	ds_read_b64 v[158:159], v221 offset:2560                   // 00000000C4B4: D8EC0A00 9E0000DD
	ds_read_b64 v[160:161], v221 offset:2688                   // 00000000C4BC: D8EC0A80 A00000DD
	ds_read_b64 v[162:163], v221 offset:2816                   // 00000000C4C4: D8EC0B00 A20000DD
	ds_read_b64 v[164:165], v221 offset:2944                   // 00000000C4CC: D8EC0B80 A40000DD
	ds_read_b64 v[166:167], v221 offset:3072                   // 00000000C4D4: D8EC0C00 A60000DD
	ds_read_b64 v[168:169], v221 offset:3200                   // 00000000C4DC: D8EC0C80 A80000DD
	ds_read_b64 v[170:171], v221 offset:3328                   // 00000000C4E4: D8EC0D00 AA0000DD
	ds_read_b64 v[172:173], v221 offset:3456                   // 00000000C4EC: D8EC0D80 AC0000DD
	ds_read_b64 v[174:175], v221 offset:3584                   // 00000000C4F4: D8EC0E00 AE0000DD
	ds_read_b64 v[176:177], v221 offset:3712                   // 00000000C4FC: D8EC0E80 B00000DD
	ds_read_b64 v[178:179], v221 offset:3840                   // 00000000C504: D8EC0F00 B20000DD
	ds_read_b64 v[180:181], v221 offset:3968                   // 00000000C50C: D8EC0F80 B40000DD
	ds_read_b64 v[182:183], v221 offset:4096                   // 00000000C514: D8EC1000 B60000DD
	ds_read_b64 v[184:185], v221 offset:4224                   // 00000000C51C: D8EC1080 B80000DD
	v_mul_f32_e32 v146, v142, v146                             // 00000000C524: 0B25258E
	v_mov_b32_e32 v147, 0                                      // 00000000C528: 7F260280
	v_pk_add_f32 v[146:147], v[28:29], v[146:147]              // 00000000C52C: D3B24092 1803251C
	v_pk_add_f32 v[146:147], v[30:31], v[146:147]              // 00000000C534: D3B24092 1803251E
	v_pk_add_f32 v[146:147], v[32:33], v[146:147]              // 00000000C53C: D3B24092 18032520
	v_pk_add_f32 v[146:147], v[34:35], v[146:147]              // 00000000C544: D3B24092 18032522
	v_pk_add_f32 v[146:147], v[36:37], v[146:147]              // 00000000C54C: D3B24092 18032524
	v_pk_add_f32 v[146:147], v[38:39], v[146:147]              // 00000000C554: D3B24092 18032526
	v_pk_add_f32 v[146:147], v[40:41], v[146:147]              // 00000000C55C: D3B24092 18032528
	v_pk_add_f32 v[146:147], v[42:43], v[146:147]              // 00000000C564: D3B24092 1803252A
	v_add_f32_e32 v146, v147, v146                             // 00000000C56C: 03252593
	v_mul_f32_e32 v148, v144, v148                             // 00000000C570: 0B292990
	v_mov_b32_e32 v149, 0                                      // 00000000C574: 7F2A0280
	v_pk_add_f32 v[148:149], v[44:45], v[148:149]              // 00000000C578: D3B24094 1803292C
	v_pk_add_f32 v[148:149], v[46:47], v[148:149]              // 00000000C580: D3B24094 1803292E
	v_pk_add_f32 v[148:149], v[48:49], v[148:149]              // 00000000C588: D3B24094 18032930
	v_pk_add_f32 v[148:149], v[50:51], v[148:149]              // 00000000C590: D3B24094 18032932
	v_pk_add_f32 v[148:149], v[52:53], v[148:149]              // 00000000C598: D3B24094 18032934
	v_pk_add_f32 v[148:149], v[54:55], v[148:149]              // 00000000C5A0: D3B24094 18032936
	v_pk_add_f32 v[148:149], v[56:57], v[148:149]              // 00000000C5A8: D3B24094 18032938
	v_pk_add_f32 v[148:149], v[58:59], v[148:149]              // 00000000C5B0: D3B24094 1803293A
	v_add_f32_e32 v148, v149, v148                             // 00000000C5B8: 03292995
	s_waitcnt lgkmcnt(0)                                       // 00000000C5BC: BF8CC07F
	v_max3_f32 v150, v154, v156, v150                          // 00000000C5C0: D1D30096 065B399A
	v_max3_f32 v151, v155, v157, v151                          // 00000000C5C8: D1D30097 065F3B9B
	v_max3_f32 v150, v158, v160, v150                          // 00000000C5D0: D1D30096 065B419E
	v_max3_f32 v151, v159, v161, v151                          // 00000000C5D8: D1D30097 065F439F
	v_max3_f32 v150, v162, v164, v150                          // 00000000C5E0: D1D30096 065B49A2
	v_max3_f32 v151, v163, v165, v151                          // 00000000C5E8: D1D30097 065F4BA3
	v_max3_f32 v150, v166, v168, v150                          // 00000000C5F0: D1D30096 065B51A6
	v_max3_f32 v151, v167, v169, v151                          // 00000000C5F8: D1D30097 065F53A7
	v_max3_f32 v150, v170, v172, v150                          // 00000000C600: D1D30096 065B59AA
	v_max3_f32 v151, v171, v173, v151                          // 00000000C608: D1D30097 065F5BAB
	v_max3_f32 v150, v174, v176, v150                          // 00000000C610: D1D30096 065B61AE
	v_max3_f32 v151, v175, v177, v151                          // 00000000C618: D1D30097 065F63AF
	v_max3_f32 v150, v178, v180, v150                          // 00000000C620: D1D30096 065B69B2
	v_max3_f32 v151, v179, v181, v151                          // 00000000C628: D1D30097 065F6BB3
	v_max3_f32 v150, v182, v184, v150                          // 00000000C630: D1D30096 065B71B6
	v_max3_f32 v151, v183, v185, v151                          // 00000000C638: D1D30097 065F73B7
	v_rcp_f32_e32 v150, v150                                   // 00000000C640: 7F2C4596
	v_rcp_f32_e32 v151, v151                                   // 00000000C644: 7F2E4597
	v_mul_f32_e32 v150, 0x43700000, v150                       // 00000000C648: 0B2D2CFF 43700000
	v_mul_f32_e32 v151, 0x43700000, v151                       // 00000000C650: 0B2F2EFF 43700000
	v_mov_b32_e32 v152, v151                                   // 00000000C658: 7F300397
	v_mov_b32_e32 v153, v151                                   // 00000000C65C: 7F320397
	v_mov_b32_e32 v151, v150                                   // 00000000C660: 7F2E0396
	v_pk_mul_f32 v[28:29], v[150:151], v[60:61]                // 00000000C664: D3B1401C 18027996
	v_pk_mul_f32 v[30:31], v[150:151], v[62:63]                // 00000000C66C: D3B1401E 18027D96
	v_pk_mul_f32 v[32:33], v[150:151], v[64:65]                // 00000000C674: D3B14020 18028196
	v_pk_mul_f32 v[34:35], v[150:151], v[66:67]                // 00000000C67C: D3B14022 18028596
	v_pk_mul_f32 v[36:37], v[150:151], v[68:69]                // 00000000C684: D3B14024 18028996
	v_pk_mul_f32 v[38:39], v[150:151], v[70:71]                // 00000000C68C: D3B14026 18028D96
	v_pk_mul_f32 v[40:41], v[150:151], v[72:73]                // 00000000C694: D3B14028 18029196
	v_pk_mul_f32 v[42:43], v[150:151], v[74:75]                // 00000000C69C: D3B1402A 18029596
	v_pk_mul_f32 v[44:45], v[152:153], v[76:77]                // 00000000C6A4: D3B1402C 18029998
	v_pk_mul_f32 v[46:47], v[152:153], v[78:79]                // 00000000C6AC: D3B1402E 18029D98
	v_pk_mul_f32 v[48:49], v[152:153], v[80:81]                // 00000000C6B4: D3B14030 1802A198
	v_pk_mul_f32 v[50:51], v[152:153], v[82:83]                // 00000000C6BC: D3B14032 1802A598
	v_pk_mul_f32 v[52:53], v[152:153], v[84:85]                // 00000000C6C4: D3B14034 1802A998
	v_pk_mul_f32 v[54:55], v[152:153], v[86:87]                // 00000000C6CC: D3B14036 1802AD98
	v_pk_mul_f32 v[56:57], v[152:153], v[88:89]                // 00000000C6D4: D3B14038 1802B198
	v_pk_mul_f32 v[58:59], v[152:153], v[90:91]                // 00000000C6DC: D3B1403A 1802B598
	v_cvt_pk_fp8_f32 v28, v28, v29                             // 00000000C6E4: D2A2001C 00023B1C
	v_cvt_pk_fp8_f32 v28, v30, v31 op_sel:[0,0,1]              // 00000000C6EC: D2A2401C 00023F1E
	v_cvt_pk_fp8_f32 v29, v32, v33                             // 00000000C6F4: D2A2001D 00024320
	v_cvt_pk_fp8_f32 v29, v34, v35 op_sel:[0,0,1]              // 00000000C6FC: D2A2401D 00024722
	v_cvt_pk_fp8_f32 v30, v36, v37                             // 00000000C704: D2A2001E 00024B24
	v_cvt_pk_fp8_f32 v30, v38, v39 op_sel:[0,0,1]              // 00000000C70C: D2A2401E 00024F26
	v_cvt_pk_fp8_f32 v31, v40, v41                             // 00000000C714: D2A2001F 00025328
	v_cvt_pk_fp8_f32 v31, v42, v43 op_sel:[0,0,1]              // 00000000C71C: D2A2401F 0002572A
	v_cvt_pk_fp8_f32 v32, v44, v45                             // 00000000C724: D2A20020 00025B2C
	v_cvt_pk_fp8_f32 v32, v46, v47 op_sel:[0,0,1]              // 00000000C72C: D2A24020 00025F2E
	v_cvt_pk_fp8_f32 v33, v48, v49                             // 00000000C734: D2A20021 00026330
	v_cvt_pk_fp8_f32 v33, v50, v51 op_sel:[0,0,1]              // 00000000C73C: D2A24021 00026732
	v_cvt_pk_fp8_f32 v34, v52, v53                             // 00000000C744: D2A20022 00026B34
	v_cvt_pk_fp8_f32 v34, v54, v55 op_sel:[0,0,1]              // 00000000C74C: D2A24022 00026F36
	v_cvt_pk_fp8_f32 v35, v56, v57                             // 00000000C754: D2A20023 00027338
	v_cvt_pk_fp8_f32 v35, v58, v59 op_sel:[0,0,1]              // 00000000C75C: D2A24023 0002773A
	ds_write_b32 v222, v28 offset:4608                         // 00000000C764: D81A1200 00001CDE
	ds_write_b32 v222, v29 offset:5632                         // 00000000C76C: D81A1600 00001DDE
	ds_write_b32 v222, v30 offset:6656                         // 00000000C774: D81A1A00 00001EDE
	ds_write_b32 v222, v31 offset:7680                         // 00000000C77C: D81A1E00 00001FDE
	ds_write_b32 v222, v32 offset:8704                         // 00000000C784: D81A2200 000020DE
	ds_write_b32 v222, v33 offset:9728                         // 00000000C78C: D81A2600 000021DE
	ds_write_b32 v222, v34 offset:10752                        // 00000000C794: D81A2A00 000022DE
	ds_write_b32 v222, v35 offset:11776                        // 00000000C79C: D81A2E00 000023DE
	v_rcp_f32_e32 v132, v150                                   // 00000000C7A4: 7F084596
	v_rcp_f32_e32 v134, v152                                   // 00000000C7A8: 7F0C4598
	v_mov_b32_e32 v133, v132                                   // 00000000C7AC: 7F0A0384
	v_mov_b32_e32 v135, v134                                   // 00000000C7B0: 7F0E0386
	v_pk_add_f32 v[108:109], v[108:109], v[92:93]              // 00000000C7B4: D3B2406C 1802B96C
	v_pk_add_f32 v[110:111], v[110:111], v[94:95]              // 00000000C7BC: D3B2406E 1802BD6E
	v_pk_add_f32 v[112:113], v[112:113], v[96:97]              // 00000000C7C4: D3B24070 1802C170
	v_pk_add_f32 v[114:115], v[114:115], v[98:99]              // 00000000C7CC: D3B24072 1802C572
	v_pk_add_f32 v[116:117], v[116:117], v[100:101]            // 00000000C7D4: D3B24074 1802C974
	v_pk_add_f32 v[118:119], v[118:119], v[102:103]            // 00000000C7DC: D3B24076 1802CD76
	v_pk_add_f32 v[120:121], v[120:121], v[104:105]            // 00000000C7E4: D3B24078 1802D178
	v_pk_add_f32 v[122:123], v[122:123], v[106:107]            // 00000000C7EC: D3B2407A 1802D57A
	s_waitcnt lgkmcnt(0)                                       // 00000000C7F4: BF8CC07F
	s_barrier                                                  // 00000000C7F8: BF8A0000
	ds_read_b128 v[28:31], v223 offset:4608                    // 00000000C7FC: D9FE1200 1C0000DF
	ds_read_b128 v[32:35], v223 offset:5632                    // 00000000C804: D9FE1600 200000DF
	ds_read_b128 v[36:39], v223 offset:6656                    // 00000000C80C: D9FE1A00 240000DF
	ds_read_b128 v[40:43], v223 offset:7680                    // 00000000C814: D9FE1E00 280000DF
	ds_read_b128 v[44:47], v223 offset:8704                    // 00000000C81C: D9FE2200 2C0000DF
	ds_read_b128 v[48:51], v223 offset:9728                    // 00000000C824: D9FE2600 300000DF
	ds_read_b128 v[52:55], v223 offset:10752                   // 00000000C82C: D9FE2A00 340000DF
	ds_read_b128 v[56:59], v223 offset:11776                   // 00000000C834: D9FE2E00 380000DF
	s_waitcnt vmcnt(10)                                        // 00000000C83C: BF8C0F7A
	v_lshrrev_b32_e32 v136, 4, v0                              // 00000000C840: 21100084
	v_lshlrev_b32_e32 v136, 4, v136                            // 00000000C844: 25111084
	v_add_u32_e32 v186, s64, v136                              // 00000000C848: 69751040
	v_add_u32_e32 v186, 4, v186                                // 00000000C84C: 69757484
	v_sub_i32 v186, v186, s62                                  // 00000000C850: D29D00BA 00007DBA
	s_mov_b32 s54, 0                                           // 00000000C858: BEB60080
	v_add_i32 v187, s54, v186                                  // 00000000C85C: D29C00BB 00037436
	v_cmp_lt_i32_e64 vcc, v187, 4                              // 00000000C864: D0C1006A 000109BB
	v_min_u32_e32 v187, 4, v187                                // 00000000C86C: 1D777684
	v_lshlrev_b32_e32 v187, 3, v187                            // 00000000C870: 25777683
	v_lshrrev_b32_e64 v188, v187, -1                           // 00000000C874: D11000BC 000183BB
	v_accvgpr_read_b32 v189, a96                               // 00000000C87C: D3D840BD 18000160
	v_cndmask_b32_e32 v189, 0, v189, vcc                       // 00000000C884: 017B7A80
	v_and_b32_e32 v189, v189, v188                             // 00000000C888: 277B79BD
	v_accvgpr_write_b32 a96, v189                              // 00000000C88C: D3D94060 180001BD
	v_accvgpr_read_b32 v189, a112                              // 00000000C894: D3D840BD 18000170
	v_cndmask_b32_e32 v189, 0, v189, vcc                       // 00000000C89C: 017B7A80
	v_and_b32_e32 v189, v189, v188                             // 00000000C8A0: 277B79BD
	v_accvgpr_write_b32 a112, v189                             // 00000000C8A4: D3D94070 180001BD
	s_mov_b32 s54, 4                                           // 00000000C8AC: BEB60084
	v_add_i32 v187, s54, v186                                  // 00000000C8B0: D29C00BB 00037436
	v_cmp_lt_i32_e64 vcc, v187, 4                              // 00000000C8B8: D0C1006A 000109BB
	v_min_u32_e32 v187, 4, v187                                // 00000000C8C0: 1D777684
	v_lshlrev_b32_e32 v187, 3, v187                            // 00000000C8C4: 25777683
	v_lshrrev_b32_e64 v188, v187, -1                           // 00000000C8C8: D11000BC 000183BB
	v_accvgpr_read_b32 v189, a97                               // 00000000C8D0: D3D840BD 18000161
	v_cndmask_b32_e32 v189, 0, v189, vcc                       // 00000000C8D8: 017B7A80
	v_and_b32_e32 v189, v189, v188                             // 00000000C8DC: 277B79BD
	v_accvgpr_write_b32 a97, v189                              // 00000000C8E0: D3D94061 180001BD
	v_accvgpr_read_b32 v189, a113                              // 00000000C8E8: D3D840BD 18000171
	v_cndmask_b32_e32 v189, 0, v189, vcc                       // 00000000C8F0: 017B7A80
	v_and_b32_e32 v189, v189, v188                             // 00000000C8F4: 277B79BD
	v_accvgpr_write_b32 a113, v189                             // 00000000C8F8: D3D94071 180001BD
	s_mov_b32 s54, 8                                           // 00000000C900: BEB60088
	v_add_i32 v187, s54, v186                                  // 00000000C904: D29C00BB 00037436
	v_cmp_lt_i32_e64 vcc, v187, 4                              // 00000000C90C: D0C1006A 000109BB
	v_min_u32_e32 v187, 4, v187                                // 00000000C914: 1D777684
	v_lshlrev_b32_e32 v187, 3, v187                            // 00000000C918: 25777683
	v_lshrrev_b32_e64 v188, v187, -1                           // 00000000C91C: D11000BC 000183BB
	v_accvgpr_read_b32 v189, a98                               // 00000000C924: D3D840BD 18000162
	v_cndmask_b32_e32 v189, 0, v189, vcc                       // 00000000C92C: 017B7A80
	v_and_b32_e32 v189, v189, v188                             // 00000000C930: 277B79BD
	v_accvgpr_write_b32 a98, v189                              // 00000000C934: D3D94062 180001BD
	v_accvgpr_read_b32 v189, a114                              // 00000000C93C: D3D840BD 18000172
	v_cndmask_b32_e32 v189, 0, v189, vcc                       // 00000000C944: 017B7A80
	v_and_b32_e32 v189, v189, v188                             // 00000000C948: 277B79BD
	v_accvgpr_write_b32 a114, v189                             // 00000000C94C: D3D94072 180001BD
	s_mov_b32 s54, 12                                          // 00000000C954: BEB6008C
	v_add_i32 v187, s54, v186                                  // 00000000C958: D29C00BB 00037436
	v_cmp_lt_i32_e64 vcc, v187, 4                              // 00000000C960: D0C1006A 000109BB
	v_min_u32_e32 v187, 4, v187                                // 00000000C968: 1D777684
	v_lshlrev_b32_e32 v187, 3, v187                            // 00000000C96C: 25777683
	v_lshrrev_b32_e64 v188, v187, -1                           // 00000000C970: D11000BC 000183BB
	v_accvgpr_read_b32 v189, a99                               // 00000000C978: D3D840BD 18000163
	v_cndmask_b32_e32 v189, 0, v189, vcc                       // 00000000C980: 017B7A80
	v_and_b32_e32 v189, v189, v188                             // 00000000C984: 277B79BD
	v_accvgpr_write_b32 a99, v189                              // 00000000C988: D3D94063 180001BD
	v_accvgpr_read_b32 v189, a115                              // 00000000C990: D3D840BD 18000173
	v_cndmask_b32_e32 v189, 0, v189, vcc                       // 00000000C998: 017B7A80
	v_and_b32_e32 v189, v189, v188                             // 00000000C99C: 277B79BD
	v_accvgpr_write_b32 a115, v189                             // 00000000C9A0: D3D94073 180001BD
	s_mov_b32 s54, 64                                          // 00000000C9A8: BEB600C0
	v_add_i32 v187, s54, v186                                  // 00000000C9AC: D29C00BB 00037436
	v_cmp_lt_i32_e64 vcc, v187, 4                              // 00000000C9B4: D0C1006A 000109BB
	v_min_u32_e32 v187, 4, v187                                // 00000000C9BC: 1D777684
	v_lshlrev_b32_e32 v187, 3, v187                            // 00000000C9C0: 25777683
	v_lshrrev_b32_e64 v188, v187, -1                           // 00000000C9C4: D11000BC 000183BB
	v_accvgpr_read_b32 v189, a100                              // 00000000C9CC: D3D840BD 18000164
	v_cndmask_b32_e32 v189, 0, v189, vcc                       // 00000000C9D4: 017B7A80
	v_and_b32_e32 v189, v189, v188                             // 00000000C9D8: 277B79BD
	v_accvgpr_write_b32 a100, v189                             // 00000000C9DC: D3D94064 180001BD
	v_accvgpr_read_b32 v189, a116                              // 00000000C9E4: D3D840BD 18000174
	v_cndmask_b32_e32 v189, 0, v189, vcc                       // 00000000C9EC: 017B7A80
	v_and_b32_e32 v189, v189, v188                             // 00000000C9F0: 277B79BD
	v_accvgpr_write_b32 a116, v189                             // 00000000C9F4: D3D94074 180001BD
	s_mov_b32 s54, 0x44                                        // 00000000C9FC: BEB600FF 00000044
	v_add_i32 v187, s54, v186                                  // 00000000CA04: D29C00BB 00037436
	v_cmp_lt_i32_e64 vcc, v187, 4                              // 00000000CA0C: D0C1006A 000109BB
	v_min_u32_e32 v187, 4, v187                                // 00000000CA14: 1D777684
	v_lshlrev_b32_e32 v187, 3, v187                            // 00000000CA18: 25777683
	v_lshrrev_b32_e64 v188, v187, -1                           // 00000000CA1C: D11000BC 000183BB
	v_accvgpr_read_b32 v189, a101                              // 00000000CA24: D3D840BD 18000165
	v_cndmask_b32_e32 v189, 0, v189, vcc                       // 00000000CA2C: 017B7A80
	v_and_b32_e32 v189, v189, v188                             // 00000000CA30: 277B79BD
	v_accvgpr_write_b32 a101, v189                             // 00000000CA34: D3D94065 180001BD
	v_accvgpr_read_b32 v189, a117                              // 00000000CA3C: D3D840BD 18000175
	v_cndmask_b32_e32 v189, 0, v189, vcc                       // 00000000CA44: 017B7A80
	v_and_b32_e32 v189, v189, v188                             // 00000000CA48: 277B79BD
	v_accvgpr_write_b32 a117, v189                             // 00000000CA4C: D3D94075 180001BD
	s_mov_b32 s54, 0x48                                        // 00000000CA54: BEB600FF 00000048
	v_add_i32 v187, s54, v186                                  // 00000000CA5C: D29C00BB 00037436
	v_cmp_lt_i32_e64 vcc, v187, 4                              // 00000000CA64: D0C1006A 000109BB
	v_min_u32_e32 v187, 4, v187                                // 00000000CA6C: 1D777684
	v_lshlrev_b32_e32 v187, 3, v187                            // 00000000CA70: 25777683
	v_lshrrev_b32_e64 v188, v187, -1                           // 00000000CA74: D11000BC 000183BB
	v_accvgpr_read_b32 v189, a102                              // 00000000CA7C: D3D840BD 18000166
	v_cndmask_b32_e32 v189, 0, v189, vcc                       // 00000000CA84: 017B7A80
	v_and_b32_e32 v189, v189, v188                             // 00000000CA88: 277B79BD
	v_accvgpr_write_b32 a102, v189                             // 00000000CA8C: D3D94066 180001BD
	v_accvgpr_read_b32 v189, a118                              // 00000000CA94: D3D840BD 18000176
	v_cndmask_b32_e32 v189, 0, v189, vcc                       // 00000000CA9C: 017B7A80
	v_and_b32_e32 v189, v189, v188                             // 00000000CAA0: 277B79BD
	v_accvgpr_write_b32 a118, v189                             // 00000000CAA4: D3D94076 180001BD
	s_mov_b32 s54, 0x4c                                        // 00000000CAAC: BEB600FF 0000004C
	v_add_i32 v187, s54, v186                                  // 00000000CAB4: D29C00BB 00037436
	v_cmp_lt_i32_e64 vcc, v187, 4                              // 00000000CABC: D0C1006A 000109BB
	v_min_u32_e32 v187, 4, v187                                // 00000000CAC4: 1D777684
	v_lshlrev_b32_e32 v187, 3, v187                            // 00000000CAC8: 25777683
	v_lshrrev_b32_e64 v188, v187, -1                           // 00000000CACC: D11000BC 000183BB
	v_accvgpr_read_b32 v189, a103                              // 00000000CAD4: D3D840BD 18000167
	v_cndmask_b32_e32 v189, 0, v189, vcc                       // 00000000CADC: 017B7A80
	v_and_b32_e32 v189, v189, v188                             // 00000000CAE0: 277B79BD
	v_accvgpr_write_b32 a103, v189                             // 00000000CAE4: D3D94067 180001BD
	v_accvgpr_read_b32 v189, a119                              // 00000000CAEC: D3D840BD 18000177
	v_cndmask_b32_e32 v189, 0, v189, vcc                       // 00000000CAF4: 017B7A80
	v_and_b32_e32 v189, v189, v188                             // 00000000CAF8: 277B79BD
	v_accvgpr_write_b32 a119, v189                             // 00000000CAFC: D3D94077 180001BD
	s_mov_b32 s54, 0x80                                        // 00000000CB04: BEB600FF 00000080
	v_add_i32 v187, s54, v186                                  // 00000000CB0C: D29C00BB 00037436
	v_cmp_lt_i32_e64 vcc, v187, 4                              // 00000000CB14: D0C1006A 000109BB
	v_min_u32_e32 v187, 4, v187                                // 00000000CB1C: 1D777684
	v_lshlrev_b32_e32 v187, 3, v187                            // 00000000CB20: 25777683
	v_lshrrev_b32_e64 v188, v187, -1                           // 00000000CB24: D11000BC 000183BB
	v_accvgpr_read_b32 v189, a104                              // 00000000CB2C: D3D840BD 18000168
	v_cndmask_b32_e32 v189, 0, v189, vcc                       // 00000000CB34: 017B7A80
	v_and_b32_e32 v189, v189, v188                             // 00000000CB38: 277B79BD
	v_accvgpr_write_b32 a104, v189                             // 00000000CB3C: D3D94068 180001BD
	v_accvgpr_read_b32 v189, a120                              // 00000000CB44: D3D840BD 18000178
	v_cndmask_b32_e32 v189, 0, v189, vcc                       // 00000000CB4C: 017B7A80
	v_and_b32_e32 v189, v189, v188                             // 00000000CB50: 277B79BD
	v_accvgpr_write_b32 a120, v189                             // 00000000CB54: D3D94078 180001BD
	s_mov_b32 s54, 0x84                                        // 00000000CB5C: BEB600FF 00000084
	v_add_i32 v187, s54, v186                                  // 00000000CB64: D29C00BB 00037436
	v_cmp_lt_i32_e64 vcc, v187, 4                              // 00000000CB6C: D0C1006A 000109BB
	v_min_u32_e32 v187, 4, v187                                // 00000000CB74: 1D777684
	v_lshlrev_b32_e32 v187, 3, v187                            // 00000000CB78: 25777683
	v_lshrrev_b32_e64 v188, v187, -1                           // 00000000CB7C: D11000BC 000183BB
	v_accvgpr_read_b32 v189, a105                              // 00000000CB84: D3D840BD 18000169
	v_cndmask_b32_e32 v189, 0, v189, vcc                       // 00000000CB8C: 017B7A80
	v_and_b32_e32 v189, v189, v188                             // 00000000CB90: 277B79BD
	v_accvgpr_write_b32 a105, v189                             // 00000000CB94: D3D94069 180001BD
	v_accvgpr_read_b32 v189, a121                              // 00000000CB9C: D3D840BD 18000179
	v_cndmask_b32_e32 v189, 0, v189, vcc                       // 00000000CBA4: 017B7A80
	v_and_b32_e32 v189, v189, v188                             // 00000000CBA8: 277B79BD
	v_accvgpr_write_b32 a121, v189                             // 00000000CBAC: D3D94079 180001BD
	s_mov_b32 s54, 0x88                                        // 00000000CBB4: BEB600FF 00000088
	v_add_i32 v187, s54, v186                                  // 00000000CBBC: D29C00BB 00037436
	v_cmp_lt_i32_e64 vcc, v187, 4                              // 00000000CBC4: D0C1006A 000109BB
	v_min_u32_e32 v187, 4, v187                                // 00000000CBCC: 1D777684
	v_lshlrev_b32_e32 v187, 3, v187                            // 00000000CBD0: 25777683
	v_lshrrev_b32_e64 v188, v187, -1                           // 00000000CBD4: D11000BC 000183BB
	v_accvgpr_read_b32 v189, a106                              // 00000000CBDC: D3D840BD 1800016A
	v_cndmask_b32_e32 v189, 0, v189, vcc                       // 00000000CBE4: 017B7A80
	v_and_b32_e32 v189, v189, v188                             // 00000000CBE8: 277B79BD
	v_accvgpr_write_b32 a106, v189                             // 00000000CBEC: D3D9406A 180001BD
	v_accvgpr_read_b32 v189, a122                              // 00000000CBF4: D3D840BD 1800017A
	v_cndmask_b32_e32 v189, 0, v189, vcc                       // 00000000CBFC: 017B7A80
	v_and_b32_e32 v189, v189, v188                             // 00000000CC00: 277B79BD
	v_accvgpr_write_b32 a122, v189                             // 00000000CC04: D3D9407A 180001BD
	s_mov_b32 s54, 0x8c                                        // 00000000CC0C: BEB600FF 0000008C
	v_add_i32 v187, s54, v186                                  // 00000000CC14: D29C00BB 00037436
	v_cmp_lt_i32_e64 vcc, v187, 4                              // 00000000CC1C: D0C1006A 000109BB
	v_min_u32_e32 v187, 4, v187                                // 00000000CC24: 1D777684
	v_lshlrev_b32_e32 v187, 3, v187                            // 00000000CC28: 25777683
	v_lshrrev_b32_e64 v188, v187, -1                           // 00000000CC2C: D11000BC 000183BB
	v_accvgpr_read_b32 v189, a107                              // 00000000CC34: D3D840BD 1800016B
	v_cndmask_b32_e32 v189, 0, v189, vcc                       // 00000000CC3C: 017B7A80
	v_and_b32_e32 v189, v189, v188                             // 00000000CC40: 277B79BD
	v_accvgpr_write_b32 a107, v189                             // 00000000CC44: D3D9406B 180001BD
	v_accvgpr_read_b32 v189, a123                              // 00000000CC4C: D3D840BD 1800017B
	v_cndmask_b32_e32 v189, 0, v189, vcc                       // 00000000CC54: 017B7A80
	v_and_b32_e32 v189, v189, v188                             // 00000000CC58: 277B79BD
	v_accvgpr_write_b32 a123, v189                             // 00000000CC5C: D3D9407B 180001BD
	s_mov_b32 s54, 0xc0                                        // 00000000CC64: BEB600FF 000000C0
	v_add_i32 v187, s54, v186                                  // 00000000CC6C: D29C00BB 00037436
	v_cmp_lt_i32_e64 vcc, v187, 4                              // 00000000CC74: D0C1006A 000109BB
	v_min_u32_e32 v187, 4, v187                                // 00000000CC7C: 1D777684
	v_lshlrev_b32_e32 v187, 3, v187                            // 00000000CC80: 25777683
	v_lshrrev_b32_e64 v188, v187, -1                           // 00000000CC84: D11000BC 000183BB
	v_accvgpr_read_b32 v189, a108                              // 00000000CC8C: D3D840BD 1800016C
	v_cndmask_b32_e32 v189, 0, v189, vcc                       // 00000000CC94: 017B7A80
	v_and_b32_e32 v189, v189, v188                             // 00000000CC98: 277B79BD
	v_accvgpr_write_b32 a108, v189                             // 00000000CC9C: D3D9406C 180001BD
	v_accvgpr_read_b32 v189, a124                              // 00000000CCA4: D3D840BD 1800017C
	v_cndmask_b32_e32 v189, 0, v189, vcc                       // 00000000CCAC: 017B7A80
	v_and_b32_e32 v189, v189, v188                             // 00000000CCB0: 277B79BD
	v_accvgpr_write_b32 a124, v189                             // 00000000CCB4: D3D9407C 180001BD
	s_mov_b32 s54, 0xc4                                        // 00000000CCBC: BEB600FF 000000C4
	v_add_i32 v187, s54, v186                                  // 00000000CCC4: D29C00BB 00037436
	v_cmp_lt_i32_e64 vcc, v187, 4                              // 00000000CCCC: D0C1006A 000109BB
	v_min_u32_e32 v187, 4, v187                                // 00000000CCD4: 1D777684
	v_lshlrev_b32_e32 v187, 3, v187                            // 00000000CCD8: 25777683
	v_lshrrev_b32_e64 v188, v187, -1                           // 00000000CCDC: D11000BC 000183BB
	v_accvgpr_read_b32 v189, a109                              // 00000000CCE4: D3D840BD 1800016D
	v_cndmask_b32_e32 v189, 0, v189, vcc                       // 00000000CCEC: 017B7A80
	v_and_b32_e32 v189, v189, v188                             // 00000000CCF0: 277B79BD
	v_accvgpr_write_b32 a109, v189                             // 00000000CCF4: D3D9406D 180001BD
	v_accvgpr_read_b32 v189, a125                              // 00000000CCFC: D3D840BD 1800017D
	v_cndmask_b32_e32 v189, 0, v189, vcc                       // 00000000CD04: 017B7A80
	v_and_b32_e32 v189, v189, v188                             // 00000000CD08: 277B79BD
	v_accvgpr_write_b32 a125, v189                             // 00000000CD0C: D3D9407D 180001BD
	s_mov_b32 s54, 0xc8                                        // 00000000CD14: BEB600FF 000000C8
	v_add_i32 v187, s54, v186                                  // 00000000CD1C: D29C00BB 00037436
	v_cmp_lt_i32_e64 vcc, v187, 4                              // 00000000CD24: D0C1006A 000109BB
	v_min_u32_e32 v187, 4, v187                                // 00000000CD2C: 1D777684
	v_lshlrev_b32_e32 v187, 3, v187                            // 00000000CD30: 25777683
	v_lshrrev_b32_e64 v188, v187, -1                           // 00000000CD34: D11000BC 000183BB
	v_accvgpr_read_b32 v189, a110                              // 00000000CD3C: D3D840BD 1800016E
	v_cndmask_b32_e32 v189, 0, v189, vcc                       // 00000000CD44: 017B7A80
	v_and_b32_e32 v189, v189, v188                             // 00000000CD48: 277B79BD
	v_accvgpr_write_b32 a110, v189                             // 00000000CD4C: D3D9406E 180001BD
	v_accvgpr_read_b32 v189, a126                              // 00000000CD54: D3D840BD 1800017E
	v_cndmask_b32_e32 v189, 0, v189, vcc                       // 00000000CD5C: 017B7A80
	v_and_b32_e32 v189, v189, v188                             // 00000000CD60: 277B79BD
	v_accvgpr_write_b32 a126, v189                             // 00000000CD64: D3D9407E 180001BD
	s_mov_b32 s54, 0xcc                                        // 00000000CD6C: BEB600FF 000000CC
	v_add_i32 v187, s54, v186                                  // 00000000CD74: D29C00BB 00037436
	v_cmp_lt_i32_e64 vcc, v187, 4                              // 00000000CD7C: D0C1006A 000109BB
	v_min_u32_e32 v187, 4, v187                                // 00000000CD84: 1D777684
	v_lshlrev_b32_e32 v187, 3, v187                            // 00000000CD88: 25777683
	v_lshrrev_b32_e64 v188, v187, -1                           // 00000000CD8C: D11000BC 000183BB
	v_accvgpr_read_b32 v189, a111                              // 00000000CD94: D3D840BD 1800016F
	v_cndmask_b32_e32 v189, 0, v189, vcc                       // 00000000CD9C: 017B7A80
	v_and_b32_e32 v189, v189, v188                             // 00000000CDA0: 277B79BD
	v_accvgpr_write_b32 a111, v189                             // 00000000CDA4: D3D9406F 180001BD
	v_accvgpr_read_b32 v189, a127                              // 00000000CDAC: D3D840BD 1800017F
	v_cndmask_b32_e32 v189, 0, v189, vcc                       // 00000000CDB4: 017B7A80
	v_and_b32_e32 v189, v189, v188                             // 00000000CDB8: 277B79BD
	v_accvgpr_write_b32 a127, v189                             // 00000000CDBC: D3D9407F 180001BD
	s_waitcnt lgkmcnt(7)                                       // 00000000CDC4: BF8CC77F
	v_mfma_f32_16x16x32_fp8_fp8 v[92:95], a[96:97], v[28:29], 0// 00000000CDC8: D3F3005C 0A023960
	v_mfma_f32_16x16x32_fp8_fp8 v[96:99], a[112:113], v[28:29], 0// 00000000CDD0: D3F30060 0A023970
	v_mfma_f32_16x16x32_fp8_fp8 v[92:95], a[98:99], v[30:31], v[92:95]// 00000000CDD8: D3F3005C 0D723D62
	buffer_load_dwordx4 a[64:67], v204, s[16:19], 0 offen      // 00000000CDE0: E05C1000 808440CC
	v_mfma_f32_16x16x32_fp8_fp8 v[96:99], a[114:115], v[30:31], v[96:99]// 00000000CDE8: D3F30060 0D823D72
	s_waitcnt lgkmcnt(6)                                       // 00000000CDF0: BF8CC67F
	v_mfma_f32_16x16x32_fp8_fp8 v[92:95], a[100:101], v[32:33], v[92:95]// 00000000CDF4: D3F3005C 0D724164
	v_mfma_f32_16x16x32_fp8_fp8 v[96:99], a[116:117], v[32:33], v[96:99]// 00000000CDFC: D3F30060 0D824174
	v_mfma_f32_16x16x32_fp8_fp8 v[92:95], a[102:103], v[34:35], v[92:95]// 00000000CE04: D3F3005C 0D724566
	buffer_load_dwordx4 a[68:71], v205, s[16:19], 0 offen      // 00000000CE0C: E05C1000 808444CD
	v_mfma_f32_16x16x32_fp8_fp8 v[96:99], a[118:119], v[34:35], v[96:99]// 00000000CE14: D3F30060 0D824576
	s_waitcnt lgkmcnt(5)                                       // 00000000CE1C: BF8CC57F
	v_mfma_f32_16x16x32_fp8_fp8 v[92:95], a[104:105], v[36:37], v[92:95]// 00000000CE20: D3F3005C 0D724968
	v_mfma_f32_16x16x32_fp8_fp8 v[96:99], a[120:121], v[36:37], v[96:99]// 00000000CE28: D3F30060 0D824978
	v_mfma_f32_16x16x32_fp8_fp8 v[92:95], a[106:107], v[38:39], v[92:95]// 00000000CE30: D3F3005C 0D724D6A
	buffer_load_dwordx4 a[72:75], v206, s[16:19], 0 offen      // 00000000CE38: E05C1000 808448CE
	v_mfma_f32_16x16x32_fp8_fp8 v[96:99], a[122:123], v[38:39], v[96:99]// 00000000CE40: D3F30060 0D824D7A
	s_waitcnt lgkmcnt(4)                                       // 00000000CE48: BF8CC47F
	v_mfma_f32_16x16x32_fp8_fp8 v[92:95], a[108:109], v[40:41], v[92:95]// 00000000CE4C: D3F3005C 0D72516C
	v_mfma_f32_16x16x32_fp8_fp8 v[96:99], a[124:125], v[40:41], v[96:99]// 00000000CE54: D3F30060 0D82517C
	v_mfma_f32_16x16x32_fp8_fp8 v[92:95], a[110:111], v[42:43], v[92:95]// 00000000CE5C: D3F3005C 0D72556E
	buffer_load_dwordx4 a[76:79], v207, s[16:19], 0 offen      // 00000000CE64: E05C1000 80844CCF
	v_mfma_f32_16x16x32_fp8_fp8 v[96:99], a[126:127], v[42:43], v[96:99]// 00000000CE6C: D3F30060 0D82557E
	s_waitcnt lgkmcnt(3)                                       // 00000000CE74: BF8CC37F
	v_mfma_f32_16x16x32_fp8_fp8 v[100:103], a[96:97], v[44:45], 0// 00000000CE78: D3F30064 0A025960
	v_mfma_f32_16x16x32_fp8_fp8 v[104:107], a[112:113], v[44:45], 0// 00000000CE80: D3F30068 0A025970
	v_mfma_f32_16x16x32_fp8_fp8 v[100:103], a[98:99], v[46:47], v[100:103]// 00000000CE88: D3F30064 0D925D62
	buffer_load_dwordx4 a[80:83], v204, s[16:19], 0 offen offset:1024// 00000000CE90: E05C1400 808450CC
	v_mfma_f32_16x16x32_fp8_fp8 v[104:107], a[114:115], v[46:47], v[104:107]// 00000000CE98: D3F30068 0DA25D72
	s_waitcnt lgkmcnt(2)                                       // 00000000CEA0: BF8CC27F
	v_mfma_f32_16x16x32_fp8_fp8 v[100:103], a[100:101], v[48:49], v[100:103]// 00000000CEA4: D3F30064 0D926164
	v_mfma_f32_16x16x32_fp8_fp8 v[104:107], a[116:117], v[48:49], v[104:107]// 00000000CEAC: D3F30068 0DA26174
	v_mfma_f32_16x16x32_fp8_fp8 v[100:103], a[102:103], v[50:51], v[100:103]// 00000000CEB4: D3F30064 0D926566
	buffer_load_dwordx4 a[84:87], v205, s[16:19], 0 offen offset:1024// 00000000CEBC: E05C1400 808454CD
	v_mfma_f32_16x16x32_fp8_fp8 v[104:107], a[118:119], v[50:51], v[104:107]// 00000000CEC4: D3F30068 0DA26576
	s_waitcnt lgkmcnt(1)                                       // 00000000CECC: BF8CC17F
	v_mfma_f32_16x16x32_fp8_fp8 v[100:103], a[104:105], v[52:53], v[100:103]// 00000000CED0: D3F30064 0D926968
	v_mfma_f32_16x16x32_fp8_fp8 v[104:107], a[120:121], v[52:53], v[104:107]// 00000000CED8: D3F30068 0DA26978
	v_mfma_f32_16x16x32_fp8_fp8 v[100:103], a[106:107], v[54:55], v[100:103]// 00000000CEE0: D3F30064 0D926D6A
	buffer_load_dwordx4 a[88:91], v206, s[16:19], 0 offen offset:1024// 00000000CEE8: E05C1400 808458CE
	v_mfma_f32_16x16x32_fp8_fp8 v[104:107], a[122:123], v[54:55], v[104:107]// 00000000CEF0: D3F30068 0DA26D7A
	s_waitcnt lgkmcnt(0)                                       // 00000000CEF8: BF8CC07F
	v_mfma_f32_16x16x32_fp8_fp8 v[100:103], a[108:109], v[56:57], v[100:103]// 00000000CEFC: D3F30064 0D92716C
	v_mfma_f32_16x16x32_fp8_fp8 v[104:107], a[124:125], v[56:57], v[104:107]// 00000000CF04: D3F30068 0DA2717C
	v_mfma_f32_16x16x32_fp8_fp8 v[100:103], a[110:111], v[58:59], v[100:103]// 00000000CF0C: D3F30064 0D92756E
	buffer_load_dwordx4 a[92:95], v207, s[16:19], 0 offen offset:1024// 00000000CF14: E05C1400 80845CCF
	v_mfma_f32_16x16x32_fp8_fp8 v[104:107], a[126:127], v[58:59], v[104:107]// 00000000CF1C: D3F30068 0DA2757E
	s_addk_i32 s64, 0x100                                      // 00000000CF24: B7400100

000000000000cf28 <label_29CA>:
	s_cmp_lt_i32 s64, s62                                      // 00000000CF28: BF043E40
	s_cbranch_scc0 label_3592                                  // 00000000CF2C: BF840BC6
	s_waitcnt vmcnt(10)                                        // 00000000CF30: BF8C0F7A
	v_mfma_f32_16x16x32_fp8_fp8 v[28:31], a[0:1], v[12:13], 0  // 00000000CF34: D3F3001C 0A021900
	s_add_u32 s12, s86, s69                                    // 00000000CF3C: 800C4556
	s_addc_u32 s13, s87, 0                                     // 00000000CF40: 820D8057
	v_mfma_f32_16x16x32_fp8_fp8 v[28:31], a[2:3], v[14:15], v[28:31]// 00000000CF44: D3F3001C 0C721D02
	s_add_u32 s16, s88, s70                                    // 00000000CF4C: 80104658
	s_addc_u32 s17, s89, 0                                     // 00000000CF50: 82118059
	v_mfma_f32_16x16x32_fp8_fp8 v[28:31], a[4:5], v[16:17], v[28:31]// 00000000CF54: D3F3001C 0C722104
	buffer_load_dwordx4 a[32:35], v202, s[12:15], 0 offen      // 00000000CF5C: E05C1000 808320CA
	v_mfma_f32_16x16x32_fp8_fp8 v[28:31], a[6:7], v[18:19], v[28:31]// 00000000CF64: D3F3001C 0C722506
	s_add_u32 s20, s90, s71                                    // 00000000CF6C: 8014475A
	s_addc_u32 s21, s91, 0                                     // 00000000CF70: 8215805B
	v_mfma_f32_16x16x32_fp8_fp8 v[32:35], a[8:9], v[12:13], 0  // 00000000CF74: D3F30020 0A021908
	s_add_u32 s24, s92, s71                                    // 00000000CF7C: 8018475C
	s_addc_u32 s25, s93, 0                                     // 00000000CF80: 8219805D
	v_mfma_f32_16x16x32_fp8_fp8 v[32:35], a[10:11], v[14:15], v[32:35]// 00000000CF84: D3F30020 0C821D0A
	s_mul_i32 s69, s59, s50                                    // 00000000CF8C: 9245323B
	s_mul_i32 s71, s59, s66                                    // 00000000CF90: 9247423B
	v_mfma_f32_16x16x32_fp8_fp8 v[32:35], a[12:13], v[16:17], v[32:35]// 00000000CF94: D3F30020 0C82210C
	buffer_load_dwordx4 a[36:39], v203, s[12:15], 0 offen      // 00000000CF9C: E05C1000 808324CB
	v_mfma_f32_16x16x32_fp8_fp8 v[32:35], a[14:15], v[18:19], v[32:35]// 00000000CFA4: D3F30020 0C82250E
	s_mul_i32 s54, s78, s51                                    // 00000000CFAC: 9236334E
	s_add_u32 s69, s69, s54                                    // 00000000CFB0: 80453645
	v_mfma_f32_16x16x32_fp8_fp8 v[36:39], a[16:17], v[12:13], 0// 00000000CFB4: D3F30024 0A021910
	s_mov_b32 s70, s69                                         // 00000000CFBC: BEC60045
	v_mfma_f32_16x16x32_fp8_fp8 v[36:39], a[18:19], v[14:15], v[36:39]// 00000000CFC0: D3F30024 0C921D12
	s_mul_i32 s54, s78, s100                                   // 00000000CFC8: 9236644E
	s_add_u32 s71, s71, s54                                    // 00000000CFCC: 80473647
	v_mfma_f32_16x16x32_fp8_fp8 v[36:39], a[20:21], v[16:17], v[36:39]// 00000000CFD0: D3F30024 0C922114
	buffer_load_dwordx4 a[40:43], v202, s[12:15], 0 offen offset:1024// 00000000CFD8: E05C1400 808328CA
	v_mfma_f32_16x16x32_fp8_fp8 v[36:39], a[22:23], v[18:19], v[36:39]// 00000000CFE0: D3F30024 0C922516
	v_mfma_f32_16x16x32_fp8_fp8 v[40:43], a[24:25], v[12:13], 0// 00000000CFE8: D3F30028 0A021918
	v_mfma_f32_16x16x32_fp8_fp8 v[40:43], a[26:27], v[14:15], v[40:43]// 00000000CFF0: D3F30028 0CA21D1A
	v_mfma_f32_16x16x32_fp8_fp8 v[40:43], a[28:29], v[16:17], v[40:43]// 00000000CFF8: D3F30028 0CA2211C
	buffer_load_dwordx4 a[44:47], v203, s[12:15], 0 offen offset:1024// 00000000D000: E05C1400 80832CCB
	v_mfma_f32_16x16x32_fp8_fp8 v[40:43], a[30:31], v[18:19], v[40:43]// 00000000D008: D3F30028 0CA2251E
	v_mfma_f32_16x16x32_fp8_fp8 v[44:47], a[0:1], v[20:21], 0  // 00000000D010: D3F3002C 0A022900
	v_mfma_f32_16x16x32_fp8_fp8 v[44:47], a[2:3], v[22:23], v[44:47]// 00000000D018: D3F3002C 0CB22D02
	v_mfma_f32_16x16x32_fp8_fp8 v[44:47], a[4:5], v[24:25], v[44:47]// 00000000D020: D3F3002C 0CB23104
	buffer_load_dwordx4 a[48:51], v202, s[12:15], 0 offen offset:2048// 00000000D028: E05C1800 808330CA
	v_mfma_f32_16x16x32_fp8_fp8 v[44:47], a[6:7], v[26:27], v[44:47]// 00000000D030: D3F3002C 0CB23506
	v_mfma_f32_16x16x32_fp8_fp8 v[48:51], a[8:9], v[20:21], 0  // 00000000D038: D3F30030 0A022908
	v_mfma_f32_16x16x32_fp8_fp8 v[48:51], a[10:11], v[22:23], v[48:51]// 00000000D040: D3F30030 0CC22D0A
	v_mfma_f32_16x16x32_fp8_fp8 v[48:51], a[12:13], v[24:25], v[48:51]// 00000000D048: D3F30030 0CC2310C
	buffer_load_dwordx4 a[52:55], v203, s[12:15], 0 offen offset:2048// 00000000D050: E05C1800 808334CB
	v_mfma_f32_16x16x32_fp8_fp8 v[48:51], a[14:15], v[26:27], v[48:51]// 00000000D058: D3F30030 0CC2350E
	v_mfma_f32_16x16x32_fp8_fp8 v[52:55], a[16:17], v[20:21], 0// 00000000D060: D3F30034 0A022910
	v_mfma_f32_16x16x32_fp8_fp8 v[52:55], a[18:19], v[22:23], v[52:55]// 00000000D068: D3F30034 0CD22D12
	v_mfma_f32_16x16x32_fp8_fp8 v[52:55], a[20:21], v[24:25], v[52:55]// 00000000D070: D3F30034 0CD23114
	buffer_load_dwordx4 a[56:59], v202, s[12:15], 0 offen offset:3072// 00000000D078: E05C1C00 808338CA
	v_mfma_f32_16x16x32_fp8_fp8 v[52:55], a[22:23], v[26:27], v[52:55]// 00000000D080: D3F30034 0CD23516
	v_mfma_f32_16x16x32_fp8_fp8 v[56:59], a[24:25], v[20:21], 0// 00000000D088: D3F30038 0A022918
	v_mfma_f32_16x16x32_fp8_fp8 v[56:59], a[26:27], v[22:23], v[56:59]// 00000000D090: D3F30038 0CE22D1A
	v_mfma_f32_16x16x32_fp8_fp8 v[56:59], a[28:29], v[24:25], v[56:59]// 00000000D098: D3F30038 0CE2311C
	buffer_load_dwordx4 a[60:63], v203, s[12:15], 0 offen offset:3072// 00000000D0A0: E05C1C00 80833CCB
	v_mfma_f32_16x16x32_fp8_fp8 v[56:59], a[30:31], v[26:27], v[56:59]// 00000000D0A8: D3F30038 0CE2351E
	s_waitcnt vmcnt(16)                                        // 00000000D0B0: BF8C4F70
	v_pk_mul_f32 v[28:29], v[124:125], v[28:29]                // 00000000D0B4: D3B1401C 1802397C
	v_pk_mul_f32 v[30:31], v[124:125], v[30:31]                // 00000000D0BC: D3B1401E 18023D7C
	v_mul_f32_dpp v28, v128, v28 row_newbcast:0 row_mask:0xf bank_mask:0xf// 00000000D0C4: 0A3838FA FF015080
	v_mul_f32_dpp v29, v128, v29 row_newbcast:1 row_mask:0xf bank_mask:0xf// 00000000D0CC: 0A3A3AFA FF015180
	v_mul_f32_dpp v30, v128, v30 row_newbcast:2 row_mask:0xf bank_mask:0xf// 00000000D0D4: 0A3C3CFA FF015280
	v_mul_f32_dpp v31, v128, v31 row_newbcast:3 row_mask:0xf bank_mask:0xf// 00000000D0DC: 0A3E3EFA FF015380
	v_pk_mul_f32 v[32:33], v[124:125], v[32:33]                // 00000000D0E4: D3B14020 1802417C
	v_pk_mul_f32 v[34:35], v[124:125], v[34:35]                // 00000000D0EC: D3B14022 1802457C
	v_mul_f32_dpp v32, v128, v32 row_newbcast:4 row_mask:0xf bank_mask:0xf// 00000000D0F4: 0A4040FA FF015480
	v_mul_f32_dpp v33, v128, v33 row_newbcast:5 row_mask:0xf bank_mask:0xf// 00000000D0FC: 0A4242FA FF015580
	v_mul_f32_dpp v34, v128, v34 row_newbcast:6 row_mask:0xf bank_mask:0xf// 00000000D104: 0A4444FA FF015680
	v_mul_f32_dpp v35, v128, v35 row_newbcast:7 row_mask:0xf bank_mask:0xf// 00000000D10C: 0A4646FA FF015780
	v_pk_mul_f32 v[36:37], v[124:125], v[36:37]                // 00000000D114: D3B14024 1802497C
	v_pk_mul_f32 v[38:39], v[124:125], v[38:39]                // 00000000D11C: D3B14026 18024D7C
	v_mul_f32_dpp v36, v128, v36 row_newbcast:8 row_mask:0xf bank_mask:0xf// 00000000D124: 0A4848FA FF015880
	v_mul_f32_dpp v37, v128, v37 row_newbcast:9 row_mask:0xf bank_mask:0xf// 00000000D12C: 0A4A4AFA FF015980
	v_mul_f32_dpp v38, v128, v38 row_newbcast:10 row_mask:0xf bank_mask:0xf// 00000000D134: 0A4C4CFA FF015A80
	v_mul_f32_dpp v39, v128, v39 row_newbcast:11 row_mask:0xf bank_mask:0xf// 00000000D13C: 0A4E4EFA FF015B80
	v_pk_mul_f32 v[40:41], v[124:125], v[40:41]                // 00000000D144: D3B14028 1802517C
	v_pk_mul_f32 v[42:43], v[124:125], v[42:43]                // 00000000D14C: D3B1402A 1802557C
	v_mul_f32_dpp v40, v128, v40 row_newbcast:12 row_mask:0xf bank_mask:0xf// 00000000D154: 0A5050FA FF015C80
	v_mul_f32_dpp v41, v128, v41 row_newbcast:13 row_mask:0xf bank_mask:0xf// 00000000D15C: 0A5252FA FF015D80
	v_mul_f32_dpp v42, v128, v42 row_newbcast:14 row_mask:0xf bank_mask:0xf// 00000000D164: 0A5454FA FF015E80
	v_mul_f32_dpp v43, v128, v43 row_newbcast:15 row_mask:0xf bank_mask:0xf// 00000000D16C: 0A5656FA FF015F80
	v_pk_mul_f32 v[44:45], v[126:127], v[44:45]                // 00000000D174: D3B1402C 1802597E
	v_pk_mul_f32 v[46:47], v[126:127], v[46:47]                // 00000000D17C: D3B1402E 18025D7E
	v_mul_f32_dpp v44, v128, v44 row_newbcast:0 row_mask:0xf bank_mask:0xf// 00000000D184: 0A5858FA FF015080
	v_mul_f32_dpp v45, v128, v45 row_newbcast:1 row_mask:0xf bank_mask:0xf// 00000000D18C: 0A5A5AFA FF015180
	v_mul_f32_dpp v46, v128, v46 row_newbcast:2 row_mask:0xf bank_mask:0xf// 00000000D194: 0A5C5CFA FF015280
	v_mul_f32_dpp v47, v128, v47 row_newbcast:3 row_mask:0xf bank_mask:0xf// 00000000D19C: 0A5E5EFA FF015380
	v_pk_mul_f32 v[48:49], v[126:127], v[48:49]                // 00000000D1A4: D3B14030 1802617E
	v_pk_mul_f32 v[50:51], v[126:127], v[50:51]                // 00000000D1AC: D3B14032 1802657E
	v_mul_f32_dpp v48, v128, v48 row_newbcast:4 row_mask:0xf bank_mask:0xf// 00000000D1B4: 0A6060FA FF015480
	v_mul_f32_dpp v49, v128, v49 row_newbcast:5 row_mask:0xf bank_mask:0xf// 00000000D1BC: 0A6262FA FF015580
	v_mul_f32_dpp v50, v128, v50 row_newbcast:6 row_mask:0xf bank_mask:0xf// 00000000D1C4: 0A6464FA FF015680
	v_mul_f32_dpp v51, v128, v51 row_newbcast:7 row_mask:0xf bank_mask:0xf// 00000000D1CC: 0A6666FA FF015780
	v_pk_mul_f32 v[52:53], v[126:127], v[52:53]                // 00000000D1D4: D3B14034 1802697E
	v_pk_mul_f32 v[54:55], v[126:127], v[54:55]                // 00000000D1DC: D3B14036 18026D7E
	v_mul_f32_dpp v52, v128, v52 row_newbcast:8 row_mask:0xf bank_mask:0xf// 00000000D1E4: 0A6868FA FF015880
	v_mul_f32_dpp v53, v128, v53 row_newbcast:9 row_mask:0xf bank_mask:0xf// 00000000D1EC: 0A6A6AFA FF015980
	v_mul_f32_dpp v54, v128, v54 row_newbcast:10 row_mask:0xf bank_mask:0xf// 00000000D1F4: 0A6C6CFA FF015A80
	v_mul_f32_dpp v55, v128, v55 row_newbcast:11 row_mask:0xf bank_mask:0xf// 00000000D1FC: 0A6E6EFA FF015B80
	v_pk_mul_f32 v[56:57], v[126:127], v[56:57]                // 00000000D204: D3B14038 1802717E
	v_pk_mul_f32 v[58:59], v[126:127], v[58:59]                // 00000000D20C: D3B1403A 1802757E
	v_mul_f32_dpp v56, v128, v56 row_newbcast:12 row_mask:0xf bank_mask:0xf// 00000000D214: 0A7070FA FF015C80
	v_mul_f32_dpp v57, v128, v57 row_newbcast:13 row_mask:0xf bank_mask:0xf// 00000000D21C: 0A7272FA FF015D80
	v_mul_f32_dpp v58, v128, v58 row_newbcast:14 row_mask:0xf bank_mask:0xf// 00000000D224: 0A7474FA FF015E80
	v_mul_f32_dpp v59, v128, v59 row_newbcast:15 row_mask:0xf bank_mask:0xf// 00000000D22C: 0A7676FA FF015F80
	v_add_u32_e32 v186, s64, v196                              // 00000000D234: 69758840
	v_add_u32_e32 v187, 0, v186                                // 00000000D238: 69777480
	v_cmp_lt_u32_e64 s[98:99], v187, v194                      // 00000000D23C: D0C90062 000385BB
	s_nop 0                                                    // 00000000D244: BF800000
	v_cndmask_b32_e64 v28, v197, v28, s[98:99]                 // 00000000D248: D100001C 018A39C5
	v_add_u32_e32 v187, 1, v186                                // 00000000D250: 69777481
	v_cmp_lt_u32_e64 s[98:99], v187, v194                      // 00000000D254: D0C90062 000385BB
	s_nop 0                                                    // 00000000D25C: BF800000
	v_cndmask_b32_e64 v29, v197, v29, s[98:99]                 // 00000000D260: D100001D 018A3BC5
	v_add_u32_e32 v187, 2, v186                                // 00000000D268: 69777482
	v_cmp_lt_u32_e64 s[98:99], v187, v194                      // 00000000D26C: D0C90062 000385BB
	s_nop 0                                                    // 00000000D274: BF800000
	v_cndmask_b32_e64 v30, v197, v30, s[98:99]                 // 00000000D278: D100001E 018A3DC5
	v_add_u32_e32 v187, 3, v186                                // 00000000D280: 69777483
	v_cmp_lt_u32_e64 s[98:99], v187, v194                      // 00000000D284: D0C90062 000385BB
	s_nop 0                                                    // 00000000D28C: BF800000
	v_cndmask_b32_e64 v31, v197, v31, s[98:99]                 // 00000000D290: D100001F 018A3FC5
	v_add_u32_e32 v187, 64, v186                               // 00000000D298: 697774C0
	v_cmp_lt_u32_e64 s[98:99], v187, v194                      // 00000000D29C: D0C90062 000385BB
	s_nop 0                                                    // 00000000D2A4: BF800000
	v_cndmask_b32_e64 v32, v197, v32, s[98:99]                 // 00000000D2A8: D1000020 018A41C5
	v_add_u32_e32 v187, 0x41, v186                             // 00000000D2B0: 697774FF 00000041
	v_cmp_lt_u32_e64 s[98:99], v187, v194                      // 00000000D2B8: D0C90062 000385BB
	s_nop 0                                                    // 00000000D2C0: BF800000
	v_cndmask_b32_e64 v33, v197, v33, s[98:99]                 // 00000000D2C4: D1000021 018A43C5
	v_add_u32_e32 v187, 0x42, v186                             // 00000000D2CC: 697774FF 00000042
	v_cmp_lt_u32_e64 s[98:99], v187, v194                      // 00000000D2D4: D0C90062 000385BB
	s_nop 0                                                    // 00000000D2DC: BF800000
	v_cndmask_b32_e64 v34, v197, v34, s[98:99]                 // 00000000D2E0: D1000022 018A45C5
	v_add_u32_e32 v187, 0x43, v186                             // 00000000D2E8: 697774FF 00000043
	v_cmp_lt_u32_e64 s[98:99], v187, v194                      // 00000000D2F0: D0C90062 000385BB
	s_nop 0                                                    // 00000000D2F8: BF800000
	v_cndmask_b32_e64 v35, v197, v35, s[98:99]                 // 00000000D2FC: D1000023 018A47C5
	v_add_u32_e32 v187, 0x80, v186                             // 00000000D304: 697774FF 00000080
	v_cmp_lt_u32_e64 s[98:99], v187, v194                      // 00000000D30C: D0C90062 000385BB
	s_nop 0                                                    // 00000000D314: BF800000
	v_cndmask_b32_e64 v36, v197, v36, s[98:99]                 // 00000000D318: D1000024 018A49C5
	v_add_u32_e32 v187, 0x81, v186                             // 00000000D320: 697774FF 00000081
	v_cmp_lt_u32_e64 s[98:99], v187, v194                      // 00000000D328: D0C90062 000385BB
	s_nop 0                                                    // 00000000D330: BF800000
	v_cndmask_b32_e64 v37, v197, v37, s[98:99]                 // 00000000D334: D1000025 018A4BC5
	v_add_u32_e32 v187, 0x82, v186                             // 00000000D33C: 697774FF 00000082
	v_cmp_lt_u32_e64 s[98:99], v187, v194                      // 00000000D344: D0C90062 000385BB
	s_nop 0                                                    // 00000000D34C: BF800000
	v_cndmask_b32_e64 v38, v197, v38, s[98:99]                 // 00000000D350: D1000026 018A4DC5
	v_add_u32_e32 v187, 0x83, v186                             // 00000000D358: 697774FF 00000083
	v_cmp_lt_u32_e64 s[98:99], v187, v194                      // 00000000D360: D0C90062 000385BB
	s_nop 0                                                    // 00000000D368: BF800000
	v_cndmask_b32_e64 v39, v197, v39, s[98:99]                 // 00000000D36C: D1000027 018A4FC5
	v_add_u32_e32 v187, 0xc0, v186                             // 00000000D374: 697774FF 000000C0
	v_cmp_lt_u32_e64 s[98:99], v187, v194                      // 00000000D37C: D0C90062 000385BB
	s_nop 0                                                    // 00000000D384: BF800000
	v_cndmask_b32_e64 v40, v197, v40, s[98:99]                 // 00000000D388: D1000028 018A51C5
	v_add_u32_e32 v187, 0xc1, v186                             // 00000000D390: 697774FF 000000C1
	v_cmp_lt_u32_e64 s[98:99], v187, v194                      // 00000000D398: D0C90062 000385BB
	s_nop 0                                                    // 00000000D3A0: BF800000
	v_cndmask_b32_e64 v41, v197, v41, s[98:99]                 // 00000000D3A4: D1000029 018A53C5
	v_add_u32_e32 v187, 0xc2, v186                             // 00000000D3AC: 697774FF 000000C2
	v_cmp_lt_u32_e64 s[98:99], v187, v194                      // 00000000D3B4: D0C90062 000385BB
	s_nop 0                                                    // 00000000D3BC: BF800000
	v_cndmask_b32_e64 v42, v197, v42, s[98:99]                 // 00000000D3C0: D100002A 018A55C5
	v_add_u32_e32 v187, 0xc3, v186                             // 00000000D3C8: 697774FF 000000C3
	v_cmp_lt_u32_e64 s[98:99], v187, v194                      // 00000000D3D0: D0C90062 000385BB
	s_nop 0                                                    // 00000000D3D8: BF800000
	v_cndmask_b32_e64 v43, v197, v43, s[98:99]                 // 00000000D3DC: D100002B 018A57C5
	v_add_u32_e32 v187, 0, v186                                // 00000000D3E4: 69777480
	v_cmp_lt_u32_e64 s[98:99], v187, v195                      // 00000000D3E8: D0C90062 000387BB
	s_nop 0                                                    // 00000000D3F0: BF800000
	v_cndmask_b32_e64 v44, v197, v44, s[98:99]                 // 00000000D3F4: D100002C 018A59C5
	v_add_u32_e32 v187, 1, v186                                // 00000000D3FC: 69777481
	v_cmp_lt_u32_e64 s[98:99], v187, v195                      // 00000000D400: D0C90062 000387BB
	s_nop 0                                                    // 00000000D408: BF800000
	v_cndmask_b32_e64 v45, v197, v45, s[98:99]                 // 00000000D40C: D100002D 018A5BC5
	v_add_u32_e32 v187, 2, v186                                // 00000000D414: 69777482
	v_cmp_lt_u32_e64 s[98:99], v187, v195                      // 00000000D418: D0C90062 000387BB
	s_nop 0                                                    // 00000000D420: BF800000
	v_cndmask_b32_e64 v46, v197, v46, s[98:99]                 // 00000000D424: D100002E 018A5DC5
	v_add_u32_e32 v187, 3, v186                                // 00000000D42C: 69777483
	v_cmp_lt_u32_e64 s[98:99], v187, v195                      // 00000000D430: D0C90062 000387BB
	s_nop 0                                                    // 00000000D438: BF800000
	v_cndmask_b32_e64 v47, v197, v47, s[98:99]                 // 00000000D43C: D100002F 018A5FC5
	v_add_u32_e32 v187, 64, v186                               // 00000000D444: 697774C0
	v_cmp_lt_u32_e64 s[98:99], v187, v195                      // 00000000D448: D0C90062 000387BB
	s_nop 0                                                    // 00000000D450: BF800000
	v_cndmask_b32_e64 v48, v197, v48, s[98:99]                 // 00000000D454: D1000030 018A61C5
	v_add_u32_e32 v187, 0x41, v186                             // 00000000D45C: 697774FF 00000041
	v_cmp_lt_u32_e64 s[98:99], v187, v195                      // 00000000D464: D0C90062 000387BB
	s_nop 0                                                    // 00000000D46C: BF800000
	v_cndmask_b32_e64 v49, v197, v49, s[98:99]                 // 00000000D470: D1000031 018A63C5
	v_add_u32_e32 v187, 0x42, v186                             // 00000000D478: 697774FF 00000042
	v_cmp_lt_u32_e64 s[98:99], v187, v195                      // 00000000D480: D0C90062 000387BB
	s_nop 0                                                    // 00000000D488: BF800000
	v_cndmask_b32_e64 v50, v197, v50, s[98:99]                 // 00000000D48C: D1000032 018A65C5
	v_add_u32_e32 v187, 0x43, v186                             // 00000000D494: 697774FF 00000043
	v_cmp_lt_u32_e64 s[98:99], v187, v195                      // 00000000D49C: D0C90062 000387BB
	s_nop 0                                                    // 00000000D4A4: BF800000
	v_cndmask_b32_e64 v51, v197, v51, s[98:99]                 // 00000000D4A8: D1000033 018A67C5
	v_add_u32_e32 v187, 0x80, v186                             // 00000000D4B0: 697774FF 00000080
	v_cmp_lt_u32_e64 s[98:99], v187, v195                      // 00000000D4B8: D0C90062 000387BB
	s_nop 0                                                    // 00000000D4C0: BF800000
	v_cndmask_b32_e64 v52, v197, v52, s[98:99]                 // 00000000D4C4: D1000034 018A69C5
	v_add_u32_e32 v187, 0x81, v186                             // 00000000D4CC: 697774FF 00000081
	v_cmp_lt_u32_e64 s[98:99], v187, v195                      // 00000000D4D4: D0C90062 000387BB
	s_nop 0                                                    // 00000000D4DC: BF800000
	v_cndmask_b32_e64 v53, v197, v53, s[98:99]                 // 00000000D4E0: D1000035 018A6BC5
	v_add_u32_e32 v187, 0x82, v186                             // 00000000D4E8: 697774FF 00000082
	v_cmp_lt_u32_e64 s[98:99], v187, v195                      // 00000000D4F0: D0C90062 000387BB
	s_nop 0                                                    // 00000000D4F8: BF800000
	v_cndmask_b32_e64 v54, v197, v54, s[98:99]                 // 00000000D4FC: D1000036 018A6DC5
	v_add_u32_e32 v187, 0x83, v186                             // 00000000D504: 697774FF 00000083
	v_cmp_lt_u32_e64 s[98:99], v187, v195                      // 00000000D50C: D0C90062 000387BB
	s_nop 0                                                    // 00000000D514: BF800000
	v_cndmask_b32_e64 v55, v197, v55, s[98:99]                 // 00000000D518: D1000037 018A6FC5
	v_add_u32_e32 v187, 0xc0, v186                             // 00000000D520: 697774FF 000000C0
	v_cmp_lt_u32_e64 s[98:99], v187, v195                      // 00000000D528: D0C90062 000387BB
	s_nop 0                                                    // 00000000D530: BF800000
	v_cndmask_b32_e64 v56, v197, v56, s[98:99]                 // 00000000D534: D1000038 018A71C5
	v_add_u32_e32 v187, 0xc1, v186                             // 00000000D53C: 697774FF 000000C1
	v_cmp_lt_u32_e64 s[98:99], v187, v195                      // 00000000D544: D0C90062 000387BB
	s_nop 0                                                    // 00000000D54C: BF800000
	v_cndmask_b32_e64 v57, v197, v57, s[98:99]                 // 00000000D550: D1000039 018A73C5
	v_add_u32_e32 v187, 0xc2, v186                             // 00000000D558: 697774FF 000000C2
	v_cmp_lt_u32_e64 s[98:99], v187, v195                      // 00000000D560: D0C90062 000387BB
	s_nop 0                                                    // 00000000D568: BF800000
	v_cndmask_b32_e64 v58, v197, v58, s[98:99]                 // 00000000D56C: D100003A 018A75C5
	v_add_u32_e32 v187, 0xc3, v186                             // 00000000D574: 697774FF 000000C3
	v_cmp_lt_u32_e64 s[98:99], v187, v195                      // 00000000D57C: D0C90062 000387BB
	s_nop 0                                                    // 00000000D584: BF800000
	v_cndmask_b32_e64 v59, v197, v59, s[98:99]                 // 00000000D588: D100003B 018A77C5
	v_mov_b32_e32 v150, v28                                    // 00000000D590: 7F2C031C
	v_max3_f32 v150, v28, v29, v150                            // 00000000D594: D1D30096 065A3B1C
	v_max3_f32 v150, v30, v31, v150                            // 00000000D59C: D1D30096 065A3F1E
	v_max3_f32 v150, v32, v33, v150                            // 00000000D5A4: D1D30096 065A4320
	v_max3_f32 v150, v34, v35, v150                            // 00000000D5AC: D1D30096 065A4722
	v_max3_f32 v150, v36, v37, v150                            // 00000000D5B4: D1D30096 065A4B24
	v_max3_f32 v150, v38, v39, v150                            // 00000000D5BC: D1D30096 065A4F26
	v_max3_f32 v150, v40, v41, v150                            // 00000000D5C4: D1D30096 065A5328
	v_max3_f32 v150, v42, v43, v150                            // 00000000D5CC: D1D30096 065A572A
	v_mov_b32_e32 v151, v44                                    // 00000000D5D4: 7F2E032C
	v_max3_f32 v151, v44, v45, v151                            // 00000000D5D8: D1D30097 065E5B2C
	v_max3_f32 v151, v46, v47, v151                            // 00000000D5E0: D1D30097 065E5F2E
	v_max3_f32 v151, v48, v49, v151                            // 00000000D5E8: D1D30097 065E6330
	v_max3_f32 v151, v50, v51, v151                            // 00000000D5F0: D1D30097 065E6732
	v_max3_f32 v151, v52, v53, v151                            // 00000000D5F8: D1D30097 065E6B34
	v_max3_f32 v151, v54, v55, v151                            // 00000000D600: D1D30097 065E6F36
	v_max3_f32 v151, v56, v57, v151                            // 00000000D608: D1D30097 065E7338
	v_max3_f32 v151, v58, v59, v151                            // 00000000D610: D1D30097 065E773A
	ds_write_b64 v220, v[150:151]                              // 00000000D618: D89A0000 000096DC
	v_pk_mul_f32 v[108:109], v[142:143], v[108:109]            // 00000000D620: D3B1406C 1802D98E
	v_pk_mul_f32 v[110:111], v[142:143], v[110:111]            // 00000000D628: D3B1406E 1802DD8E
	v_pk_mul_f32 v[112:113], v[142:143], v[112:113]            // 00000000D630: D3B14070 1802E18E
	v_pk_mul_f32 v[114:115], v[142:143], v[114:115]            // 00000000D638: D3B14072 1802E58E
	v_pk_mul_f32 v[116:117], v[144:145], v[116:117]            // 00000000D640: D3B14074 1802E990
	v_pk_mul_f32 v[118:119], v[144:145], v[118:119]            // 00000000D648: D3B14076 1802ED90
	v_pk_mul_f32 v[120:121], v[144:145], v[120:121]            // 00000000D650: D3B14078 1802F190
	v_pk_mul_f32 v[122:123], v[144:145], v[122:123]            // 00000000D658: D3B1407A 1802F590
	s_waitcnt lgkmcnt(0)                                       // 00000000D660: BF8CC07F
	s_barrier                                                  // 00000000D664: BF8A0000
	ds_read_b64 v[154:155], v221                               // 00000000D668: D8EC0000 9A0000DD
	ds_read_b64 v[156:157], v221 offset:128                    // 00000000D670: D8EC0080 9C0000DD
	ds_read_b64 v[158:159], v221 offset:256                    // 00000000D678: D8EC0100 9E0000DD
	ds_read_b64 v[160:161], v221 offset:384                    // 00000000D680: D8EC0180 A00000DD
	ds_read_b64 v[162:163], v221 offset:512                    // 00000000D688: D8EC0200 A20000DD
	ds_read_b64 v[164:165], v221 offset:640                    // 00000000D690: D8EC0280 A40000DD
	ds_read_b64 v[166:167], v221 offset:768                    // 00000000D698: D8EC0300 A60000DD
	ds_read_b64 v[168:169], v221 offset:896                    // 00000000D6A0: D8EC0380 A80000DD
	ds_read_b64 v[170:171], v221 offset:1024                   // 00000000D6A8: D8EC0400 AA0000DD
	ds_read_b64 v[172:173], v221 offset:1152                   // 00000000D6B0: D8EC0480 AC0000DD
	ds_read_b64 v[174:175], v221 offset:1280                   // 00000000D6B8: D8EC0500 AE0000DD
	ds_read_b64 v[176:177], v221 offset:1408                   // 00000000D6C0: D8EC0580 B00000DD
	ds_read_b64 v[178:179], v221 offset:1536                   // 00000000D6C8: D8EC0600 B20000DD
	ds_read_b64 v[180:181], v221 offset:1664                   // 00000000D6D0: D8EC0680 B40000DD
	ds_read_b64 v[182:183], v221 offset:1792                   // 00000000D6D8: D8EC0700 B60000DD
	ds_read_b64 v[184:185], v221 offset:1920                   // 00000000D6E0: D8EC0780 B80000DD
	v_pk_mul_f32 v[92:93], v[132:133], v[92:93]                // 00000000D6E8: D3B1405C 1802B984
	v_pk_mul_f32 v[94:95], v[132:133], v[94:95]                // 00000000D6F0: D3B1405E 1802BD84
	v_pk_mul_f32 v[96:97], v[132:133], v[96:97]                // 00000000D6F8: D3B14060 1802C184
	v_pk_mul_f32 v[98:99], v[132:133], v[98:99]                // 00000000D700: D3B14062 1802C584
	v_pk_mul_f32 v[100:101], v[134:135], v[100:101]            // 00000000D708: D3B14064 1802C986
	v_pk_mul_f32 v[102:103], v[134:135], v[102:103]            // 00000000D710: D3B14066 1802CD86
	v_pk_mul_f32 v[104:105], v[134:135], v[104:105]            // 00000000D718: D3B14068 1802D186
	v_pk_mul_f32 v[106:107], v[134:135], v[106:107]            // 00000000D720: D3B1406A 1802D586
	s_waitcnt lgkmcnt(0)                                       // 00000000D728: BF8CC07F
	v_max3_f32 v150, v154, v156, v150                          // 00000000D72C: D1D30096 065B399A
	v_max3_f32 v151, v155, v157, v151                          // 00000000D734: D1D30097 065F3B9B
	v_max3_f32 v150, v158, v160, v150                          // 00000000D73C: D1D30096 065B419E
	v_max3_f32 v151, v159, v161, v151                          // 00000000D744: D1D30097 065F439F
	v_max3_f32 v150, v162, v164, v150                          // 00000000D74C: D1D30096 065B49A2
	v_max3_f32 v151, v163, v165, v151                          // 00000000D754: D1D30097 065F4BA3
	v_max3_f32 v150, v166, v168, v150                          // 00000000D75C: D1D30096 065B51A6
	v_max3_f32 v151, v167, v169, v151                          // 00000000D764: D1D30097 065F53A7
	v_max3_f32 v150, v170, v172, v150                          // 00000000D76C: D1D30096 065B59AA
	v_max3_f32 v151, v171, v173, v151                          // 00000000D774: D1D30097 065F5BAB
	v_max3_f32 v150, v174, v176, v150                          // 00000000D77C: D1D30096 065B61AE
	v_max3_f32 v151, v175, v177, v151                          // 00000000D784: D1D30097 065F63AF
	v_max3_f32 v150, v178, v180, v150                          // 00000000D78C: D1D30096 065B69B2
	v_max3_f32 v151, v179, v181, v151                          // 00000000D794: D1D30097 065F6BB3
	v_max3_f32 v150, v182, v184, v150                          // 00000000D79C: D1D30096 065B71B6
	v_max3_f32 v151, v183, v185, v151                          // 00000000D7A4: D1D30097 065F73B7
	v_max_f32_e32 v140, v150, v138                             // 00000000D7AC: 17191596
	v_mul_f32_e64 v186, -s46, v140                             // 00000000D7B0: D10500BA 2003182E
	v_mov_b32_e32 v187, v186                                   // 00000000D7B8: 7F7603BA
	v_pk_fma_f32 v[28:29], v[28:29], s[46:47], v[186:187]      // 00000000D7BC: D3B0401C 1EE85D1C
	v_pk_fma_f32 v[30:31], v[30:31], s[46:47], v[186:187]      // 00000000D7C4: D3B0401E 1EE85D1E
	v_exp_f32_e32 v28, v28                                     // 00000000D7CC: 7E38411C
	v_exp_f32_e32 v29, v29                                     // 00000000D7D0: 7E3A411D
	v_exp_f32_e32 v30, v30                                     // 00000000D7D4: 7E3C411E
	v_exp_f32_e32 v31, v31                                     // 00000000D7D8: 7E3E411F
	v_pk_fma_f32 v[32:33], v[32:33], s[46:47], v[186:187]      // 00000000D7DC: D3B04020 1EE85D20
	v_pk_fma_f32 v[34:35], v[34:35], s[46:47], v[186:187]      // 00000000D7E4: D3B04022 1EE85D22
	v_exp_f32_e32 v32, v32                                     // 00000000D7EC: 7E404120
	v_exp_f32_e32 v33, v33                                     // 00000000D7F0: 7E424121
	v_exp_f32_e32 v34, v34                                     // 00000000D7F4: 7E444122
	v_exp_f32_e32 v35, v35                                     // 00000000D7F8: 7E464123
	v_pk_fma_f32 v[36:37], v[36:37], s[46:47], v[186:187]      // 00000000D7FC: D3B04024 1EE85D24
	v_pk_fma_f32 v[38:39], v[38:39], s[46:47], v[186:187]      // 00000000D804: D3B04026 1EE85D26
	v_exp_f32_e32 v36, v36                                     // 00000000D80C: 7E484124
	v_exp_f32_e32 v37, v37                                     // 00000000D810: 7E4A4125
	v_exp_f32_e32 v38, v38                                     // 00000000D814: 7E4C4126
	v_exp_f32_e32 v39, v39                                     // 00000000D818: 7E4E4127
	v_pk_fma_f32 v[40:41], v[40:41], s[46:47], v[186:187]      // 00000000D81C: D3B04028 1EE85D28
	v_pk_fma_f32 v[42:43], v[42:43], s[46:47], v[186:187]      // 00000000D824: D3B0402A 1EE85D2A
	v_exp_f32_e32 v40, v40                                     // 00000000D82C: 7E504128
	v_exp_f32_e32 v41, v41                                     // 00000000D830: 7E524129
	v_exp_f32_e32 v42, v42                                     // 00000000D834: 7E54412A
	v_exp_f32_e32 v43, v43                                     // 00000000D838: 7E56412B
	v_max_f32_e32 v141, v151, v139                             // 00000000D83C: 171B1797
	v_mul_f32_e64 v186, -s46, v141                             // 00000000D840: D10500BA 20031A2E
	v_mov_b32_e32 v187, v186                                   // 00000000D848: 7F7603BA
	v_pk_fma_f32 v[44:45], v[44:45], s[46:47], v[186:187]      // 00000000D84C: D3B0402C 1EE85D2C
	v_pk_fma_f32 v[46:47], v[46:47], s[46:47], v[186:187]      // 00000000D854: D3B0402E 1EE85D2E
	v_exp_f32_e32 v44, v44                                     // 00000000D85C: 7E58412C
	v_exp_f32_e32 v45, v45                                     // 00000000D860: 7E5A412D
	v_exp_f32_e32 v46, v46                                     // 00000000D864: 7E5C412E
	v_exp_f32_e32 v47, v47                                     // 00000000D868: 7E5E412F
	v_pk_fma_f32 v[48:49], v[48:49], s[46:47], v[186:187]      // 00000000D86C: D3B04030 1EE85D30
	v_pk_fma_f32 v[50:51], v[50:51], s[46:47], v[186:187]      // 00000000D874: D3B04032 1EE85D32
	v_exp_f32_e32 v48, v48                                     // 00000000D87C: 7E604130
	v_exp_f32_e32 v49, v49                                     // 00000000D880: 7E624131
	v_exp_f32_e32 v50, v50                                     // 00000000D884: 7E644132
	v_exp_f32_e32 v51, v51                                     // 00000000D888: 7E664133
	v_pk_fma_f32 v[52:53], v[52:53], s[46:47], v[186:187]      // 00000000D88C: D3B04034 1EE85D34
	v_pk_fma_f32 v[54:55], v[54:55], s[46:47], v[186:187]      // 00000000D894: D3B04036 1EE85D36
	v_exp_f32_e32 v52, v52                                     // 00000000D89C: 7E684134
	v_exp_f32_e32 v53, v53                                     // 00000000D8A0: 7E6A4135
	v_exp_f32_e32 v54, v54                                     // 00000000D8A4: 7E6C4136
	v_exp_f32_e32 v55, v55                                     // 00000000D8A8: 7E6E4137
	v_pk_fma_f32 v[56:57], v[56:57], s[46:47], v[186:187]      // 00000000D8AC: D3B04038 1EE85D38
	v_pk_fma_f32 v[58:59], v[58:59], s[46:47], v[186:187]      // 00000000D8B4: D3B0403A 1EE85D3A
	v_exp_f32_e32 v56, v56                                     // 00000000D8BC: 7E704138
	v_exp_f32_e32 v57, v57                                     // 00000000D8C0: 7E724139
	v_exp_f32_e32 v58, v58                                     // 00000000D8C4: 7E74413A
	v_exp_f32_e32 v59, v59                                     // 00000000D8C8: 7E76413B
	v_mul_f32_dpp v60, v130, v28 row_newbcast:0 row_mask:0xf bank_mask:0xf// 00000000D8CC: 0A7838FA FF015082
	v_mul_f32_dpp v61, v130, v29 row_newbcast:1 row_mask:0xf bank_mask:0xf// 00000000D8D4: 0A7A3AFA FF015182
	v_mul_f32_dpp v62, v130, v30 row_newbcast:2 row_mask:0xf bank_mask:0xf// 00000000D8DC: 0A7C3CFA FF015282
	v_mul_f32_dpp v63, v130, v31 row_newbcast:3 row_mask:0xf bank_mask:0xf// 00000000D8E4: 0A7E3EFA FF015382
	v_mul_f32_dpp v64, v130, v32 row_newbcast:4 row_mask:0xf bank_mask:0xf// 00000000D8EC: 0A8040FA FF015482
	v_mul_f32_dpp v65, v130, v33 row_newbcast:5 row_mask:0xf bank_mask:0xf// 00000000D8F4: 0A8242FA FF015582
	v_mul_f32_dpp v66, v130, v34 row_newbcast:6 row_mask:0xf bank_mask:0xf// 00000000D8FC: 0A8444FA FF015682
	v_mul_f32_dpp v67, v130, v35 row_newbcast:7 row_mask:0xf bank_mask:0xf// 00000000D904: 0A8646FA FF015782
	v_mul_f32_dpp v68, v130, v36 row_newbcast:8 row_mask:0xf bank_mask:0xf// 00000000D90C: 0A8848FA FF015882
	v_mul_f32_dpp v69, v130, v37 row_newbcast:9 row_mask:0xf bank_mask:0xf// 00000000D914: 0A8A4AFA FF015982
	v_mul_f32_dpp v70, v130, v38 row_newbcast:10 row_mask:0xf bank_mask:0xf// 00000000D91C: 0A8C4CFA FF015A82
	v_mul_f32_dpp v71, v130, v39 row_newbcast:11 row_mask:0xf bank_mask:0xf// 00000000D924: 0A8E4EFA FF015B82
	v_mul_f32_dpp v72, v130, v40 row_newbcast:12 row_mask:0xf bank_mask:0xf// 00000000D92C: 0A9050FA FF015C82
	v_mul_f32_dpp v73, v130, v41 row_newbcast:13 row_mask:0xf bank_mask:0xf// 00000000D934: 0A9252FA FF015D82
	v_mul_f32_dpp v74, v130, v42 row_newbcast:14 row_mask:0xf bank_mask:0xf// 00000000D93C: 0A9454FA FF015E82
	v_mul_f32_dpp v75, v130, v43 row_newbcast:15 row_mask:0xf bank_mask:0xf// 00000000D944: 0A9656FA FF015F82
	v_mul_f32_dpp v76, v130, v44 row_newbcast:0 row_mask:0xf bank_mask:0xf// 00000000D94C: 0A9858FA FF015082
	v_mul_f32_dpp v77, v130, v45 row_newbcast:1 row_mask:0xf bank_mask:0xf// 00000000D954: 0A9A5AFA FF015182
	v_mul_f32_dpp v78, v130, v46 row_newbcast:2 row_mask:0xf bank_mask:0xf// 00000000D95C: 0A9C5CFA FF015282
	v_mul_f32_dpp v79, v130, v47 row_newbcast:3 row_mask:0xf bank_mask:0xf// 00000000D964: 0A9E5EFA FF015382
	v_mul_f32_dpp v80, v130, v48 row_newbcast:4 row_mask:0xf bank_mask:0xf// 00000000D96C: 0AA060FA FF015482
	v_mul_f32_dpp v81, v130, v49 row_newbcast:5 row_mask:0xf bank_mask:0xf// 00000000D974: 0AA262FA FF015582
	v_mul_f32_dpp v82, v130, v50 row_newbcast:6 row_mask:0xf bank_mask:0xf// 00000000D97C: 0AA464FA FF015682
	v_mul_f32_dpp v83, v130, v51 row_newbcast:7 row_mask:0xf bank_mask:0xf// 00000000D984: 0AA666FA FF015782
	v_mul_f32_dpp v84, v130, v52 row_newbcast:8 row_mask:0xf bank_mask:0xf// 00000000D98C: 0AA868FA FF015882
	v_mul_f32_dpp v85, v130, v53 row_newbcast:9 row_mask:0xf bank_mask:0xf// 00000000D994: 0AAA6AFA FF015982
	v_mul_f32_dpp v86, v130, v54 row_newbcast:10 row_mask:0xf bank_mask:0xf// 00000000D99C: 0AAC6CFA FF015A82
	v_mul_f32_dpp v87, v130, v55 row_newbcast:11 row_mask:0xf bank_mask:0xf// 00000000D9A4: 0AAE6EFA FF015B82
	v_mul_f32_dpp v88, v130, v56 row_newbcast:12 row_mask:0xf bank_mask:0xf// 00000000D9AC: 0AB070FA FF015C82
	v_mul_f32_dpp v89, v130, v57 row_newbcast:13 row_mask:0xf bank_mask:0xf// 00000000D9B4: 0AB272FA FF015D82
	v_mul_f32_dpp v90, v130, v58 row_newbcast:14 row_mask:0xf bank_mask:0xf// 00000000D9BC: 0AB474FA FF015E82
	v_mul_f32_dpp v91, v130, v59 row_newbcast:15 row_mask:0xf bank_mask:0xf// 00000000D9C4: 0AB676FA FF015F82
	v_add_u32_e32 v186, s64, v196                              // 00000000D9CC: 69758840
	v_add_u32_e32 v187, 0, v186                                // 00000000D9D0: 69777480
	v_cmp_lt_u32_e32 vcc, v187, v194                           // 00000000D9D4: 7D9385BB
	v_cndmask_b32_e32 v60, 0, v60, vcc                         // 00000000D9D8: 00787880
	v_cmp_lt_u32_e32 vcc, v187, v195                           // 00000000D9DC: 7D9387BB
	v_cndmask_b32_e32 v76, 0, v76, vcc                         // 00000000D9E0: 00989880
	v_add_u32_e32 v187, 1, v186                                // 00000000D9E4: 69777481
	v_cmp_lt_u32_e32 vcc, v187, v194                           // 00000000D9E8: 7D9385BB
	v_cndmask_b32_e32 v61, 0, v61, vcc                         // 00000000D9EC: 007A7A80
	v_cmp_lt_u32_e32 vcc, v187, v195                           // 00000000D9F0: 7D9387BB
	v_cndmask_b32_e32 v77, 0, v77, vcc                         // 00000000D9F4: 009A9A80
	v_add_u32_e32 v187, 2, v186                                // 00000000D9F8: 69777482
	v_cmp_lt_u32_e32 vcc, v187, v194                           // 00000000D9FC: 7D9385BB
	v_cndmask_b32_e32 v62, 0, v62, vcc                         // 00000000DA00: 007C7C80
	v_cmp_lt_u32_e32 vcc, v187, v195                           // 00000000DA04: 7D9387BB
	v_cndmask_b32_e32 v78, 0, v78, vcc                         // 00000000DA08: 009C9C80
	v_add_u32_e32 v187, 3, v186                                // 00000000DA0C: 69777483
	v_cmp_lt_u32_e32 vcc, v187, v194                           // 00000000DA10: 7D9385BB
	v_cndmask_b32_e32 v63, 0, v63, vcc                         // 00000000DA14: 007E7E80
	v_cmp_lt_u32_e32 vcc, v187, v195                           // 00000000DA18: 7D9387BB
	v_cndmask_b32_e32 v79, 0, v79, vcc                         // 00000000DA1C: 009E9E80
	v_add_u32_e32 v187, 64, v186                               // 00000000DA20: 697774C0
	v_cmp_lt_u32_e32 vcc, v187, v194                           // 00000000DA24: 7D9385BB
	v_cndmask_b32_e32 v64, 0, v64, vcc                         // 00000000DA28: 00808080
	v_cmp_lt_u32_e32 vcc, v187, v195                           // 00000000DA2C: 7D9387BB
	v_cndmask_b32_e32 v80, 0, v80, vcc                         // 00000000DA30: 00A0A080
	v_add_u32_e32 v187, 0x41, v186                             // 00000000DA34: 697774FF 00000041
	v_cmp_lt_u32_e32 vcc, v187, v194                           // 00000000DA3C: 7D9385BB
	v_cndmask_b32_e32 v65, 0, v65, vcc                         // 00000000DA40: 00828280
	v_cmp_lt_u32_e32 vcc, v187, v195                           // 00000000DA44: 7D9387BB
	v_cndmask_b32_e32 v81, 0, v81, vcc                         // 00000000DA48: 00A2A280
	v_add_u32_e32 v187, 0x42, v186                             // 00000000DA4C: 697774FF 00000042
	v_cmp_lt_u32_e32 vcc, v187, v194                           // 00000000DA54: 7D9385BB
	v_cndmask_b32_e32 v66, 0, v66, vcc                         // 00000000DA58: 00848480
	v_cmp_lt_u32_e32 vcc, v187, v195                           // 00000000DA5C: 7D9387BB
	v_cndmask_b32_e32 v82, 0, v82, vcc                         // 00000000DA60: 00A4A480
	v_add_u32_e32 v187, 0x43, v186                             // 00000000DA64: 697774FF 00000043
	v_cmp_lt_u32_e32 vcc, v187, v194                           // 00000000DA6C: 7D9385BB
	v_cndmask_b32_e32 v67, 0, v67, vcc                         // 00000000DA70: 00868680
	v_cmp_lt_u32_e32 vcc, v187, v195                           // 00000000DA74: 7D9387BB
	v_cndmask_b32_e32 v83, 0, v83, vcc                         // 00000000DA78: 00A6A680
	v_add_u32_e32 v187, 0x80, v186                             // 00000000DA7C: 697774FF 00000080
	v_cmp_lt_u32_e32 vcc, v187, v194                           // 00000000DA84: 7D9385BB
	v_cndmask_b32_e32 v68, 0, v68, vcc                         // 00000000DA88: 00888880
	v_cmp_lt_u32_e32 vcc, v187, v195                           // 00000000DA8C: 7D9387BB
	v_cndmask_b32_e32 v84, 0, v84, vcc                         // 00000000DA90: 00A8A880
	v_add_u32_e32 v187, 0x81, v186                             // 00000000DA94: 697774FF 00000081
	v_cmp_lt_u32_e32 vcc, v187, v194                           // 00000000DA9C: 7D9385BB
	v_cndmask_b32_e32 v69, 0, v69, vcc                         // 00000000DAA0: 008A8A80
	v_cmp_lt_u32_e32 vcc, v187, v195                           // 00000000DAA4: 7D9387BB
	v_cndmask_b32_e32 v85, 0, v85, vcc                         // 00000000DAA8: 00AAAA80
	v_add_u32_e32 v187, 0x82, v186                             // 00000000DAAC: 697774FF 00000082
	v_cmp_lt_u32_e32 vcc, v187, v194                           // 00000000DAB4: 7D9385BB
	v_cndmask_b32_e32 v70, 0, v70, vcc                         // 00000000DAB8: 008C8C80
	v_cmp_lt_u32_e32 vcc, v187, v195                           // 00000000DABC: 7D9387BB
	v_cndmask_b32_e32 v86, 0, v86, vcc                         // 00000000DAC0: 00ACAC80
	v_add_u32_e32 v187, 0x83, v186                             // 00000000DAC4: 697774FF 00000083
	v_cmp_lt_u32_e32 vcc, v187, v194                           // 00000000DACC: 7D9385BB
	v_cndmask_b32_e32 v71, 0, v71, vcc                         // 00000000DAD0: 008E8E80
	v_cmp_lt_u32_e32 vcc, v187, v195                           // 00000000DAD4: 7D9387BB
	v_cndmask_b32_e32 v87, 0, v87, vcc                         // 00000000DAD8: 00AEAE80
	v_add_u32_e32 v187, 0xc0, v186                             // 00000000DADC: 697774FF 000000C0
	v_cmp_lt_u32_e32 vcc, v187, v194                           // 00000000DAE4: 7D9385BB
	v_cndmask_b32_e32 v72, 0, v72, vcc                         // 00000000DAE8: 00909080
	v_cmp_lt_u32_e32 vcc, v187, v195                           // 00000000DAEC: 7D9387BB
	v_cndmask_b32_e32 v88, 0, v88, vcc                         // 00000000DAF0: 00B0B080
	v_add_u32_e32 v187, 0xc1, v186                             // 00000000DAF4: 697774FF 000000C1
	v_cmp_lt_u32_e32 vcc, v187, v194                           // 00000000DAFC: 7D9385BB
	v_cndmask_b32_e32 v73, 0, v73, vcc                         // 00000000DB00: 00929280
	v_cmp_lt_u32_e32 vcc, v187, v195                           // 00000000DB04: 7D9387BB
	v_cndmask_b32_e32 v89, 0, v89, vcc                         // 00000000DB08: 00B2B280
	v_add_u32_e32 v187, 0xc2, v186                             // 00000000DB0C: 697774FF 000000C2
	v_cmp_lt_u32_e32 vcc, v187, v194                           // 00000000DB14: 7D9385BB
	v_cndmask_b32_e32 v74, 0, v74, vcc                         // 00000000DB18: 00949480
	v_cmp_lt_u32_e32 vcc, v187, v195                           // 00000000DB1C: 7D9387BB
	v_cndmask_b32_e32 v90, 0, v90, vcc                         // 00000000DB20: 00B4B480
	v_add_u32_e32 v187, 0xc3, v186                             // 00000000DB24: 697774FF 000000C3
	v_cmp_lt_u32_e32 vcc, v187, v194                           // 00000000DB2C: 7D9385BB
	v_cndmask_b32_e32 v75, 0, v75, vcc                         // 00000000DB30: 00969680
	v_cmp_lt_u32_e32 vcc, v187, v195                           // 00000000DB34: 7D9387BB
	v_cndmask_b32_e32 v91, 0, v91, vcc                         // 00000000DB38: 00B6B680
	v_mov_b32_e32 v150, 0x358637bd                             // 00000000DB3C: 7F2C02FF 358637BD
	v_max3_f32 v150, |v60|, |v61|, v150                        // 00000000DB44: D1D30396 065A7B3C
	v_max3_f32 v150, |v62|, |v63|, v150                        // 00000000DB4C: D1D30396 065A7F3E
	v_max3_f32 v150, |v64|, |v65|, v150                        // 00000000DB54: D1D30396 065A8340
	v_max3_f32 v150, |v66|, |v67|, v150                        // 00000000DB5C: D1D30396 065A8742
	v_max3_f32 v150, |v68|, |v69|, v150                        // 00000000DB64: D1D30396 065A8B44
	v_max3_f32 v150, |v70|, |v71|, v150                        // 00000000DB6C: D1D30396 065A8F46
	v_max3_f32 v150, |v72|, |v73|, v150                        // 00000000DB74: D1D30396 065A9348
	v_max3_f32 v150, |v74|, |v75|, v150                        // 00000000DB7C: D1D30396 065A974A
	v_mov_b32_e32 v151, 0x358637bd                             // 00000000DB84: 7F2E02FF 358637BD
	v_max3_f32 v151, |v76|, |v77|, v151                        // 00000000DB8C: D1D30397 065E9B4C
	v_max3_f32 v151, |v78|, |v79|, v151                        // 00000000DB94: D1D30397 065E9F4E
	v_max3_f32 v151, |v80|, |v81|, v151                        // 00000000DB9C: D1D30397 065EA350
	v_max3_f32 v151, |v82|, |v83|, v151                        // 00000000DBA4: D1D30397 065EA752
	v_max3_f32 v151, |v84|, |v85|, v151                        // 00000000DBAC: D1D30397 065EAB54
	v_max3_f32 v151, |v86|, |v87|, v151                        // 00000000DBB4: D1D30397 065EAF56
	v_max3_f32 v151, |v88|, |v89|, v151                        // 00000000DBBC: D1D30397 065EB358
	v_max3_f32 v151, |v90|, |v91|, v151                        // 00000000DBC4: D1D30397 065EB75A
	ds_write_b64 v220, v[150:151] offset:2304                  // 00000000DBCC: D89A0900 000096DC
	buffer_load_dword v129, v208, s[20:23], 0 offen            // 00000000DBD4: E0501000 800581D0
	v_sub_f32_e32 v142, v138, v140                             // 00000000DBDC: 051D198A
	v_cmp_eq_u32_e64 s[98:99], v197, v138                      // 00000000DBE0: D0CA0062 000315C5
	v_cndmask_b32_e64 v142, v142, 0, s[98:99]                  // 00000000DBE8: D100008E 0189018E
	v_mov_b32_e32 v138, v140                                   // 00000000DBF0: 7F14038C
	v_mul_f32_e32 v142, s46, v142                              // 00000000DBF4: 0B1D1C2E
	v_exp_f32_e32 v142, v142                                   // 00000000DBF8: 7F1C418E
	v_sub_f32_e32 v144, v139, v141                             // 00000000DBFC: 05211B8B
	v_cmp_eq_u32_e64 s[98:99], v197, v139                      // 00000000DC00: D0CA0062 000317C5
	v_cndmask_b32_e64 v144, v144, 0, s[98:99]                  // 00000000DC08: D1000090 01890190
	v_mov_b32_e32 v139, v141                                   // 00000000DC10: 7F16038D
	v_mul_f32_e32 v144, s46, v144                              // 00000000DC14: 0B21202E
	v_exp_f32_e32 v144, v144                                   // 00000000DC18: 7F204190
	v_mov_b32_e32 v143, v142                                   // 00000000DC1C: 7F1E038E
	v_mov_b32_e32 v145, v144                                   // 00000000DC20: 7F220390
	buffer_load_dword v131, v209, s[24:27], 0 offen            // 00000000DC24: E0501000 800683D1
	s_waitcnt lgkmcnt(0)                                       // 00000000DC2C: BF8CC07F
	s_barrier                                                  // 00000000DC30: BF8A0000
	ds_read_b64 v[154:155], v221 offset:2304                   // 00000000DC34: D8EC0900 9A0000DD
	ds_read_b64 v[156:157], v221 offset:2432                   // 00000000DC3C: D8EC0980 9C0000DD
	ds_read_b64 v[158:159], v221 offset:2560                   // 00000000DC44: D8EC0A00 9E0000DD
	ds_read_b64 v[160:161], v221 offset:2688                   // 00000000DC4C: D8EC0A80 A00000DD
	ds_read_b64 v[162:163], v221 offset:2816                   // 00000000DC54: D8EC0B00 A20000DD
	ds_read_b64 v[164:165], v221 offset:2944                   // 00000000DC5C: D8EC0B80 A40000DD
	ds_read_b64 v[166:167], v221 offset:3072                   // 00000000DC64: D8EC0C00 A60000DD
	ds_read_b64 v[168:169], v221 offset:3200                   // 00000000DC6C: D8EC0C80 A80000DD
	ds_read_b64 v[170:171], v221 offset:3328                   // 00000000DC74: D8EC0D00 AA0000DD
	ds_read_b64 v[172:173], v221 offset:3456                   // 00000000DC7C: D8EC0D80 AC0000DD
	ds_read_b64 v[174:175], v221 offset:3584                   // 00000000DC84: D8EC0E00 AE0000DD
	ds_read_b64 v[176:177], v221 offset:3712                   // 00000000DC8C: D8EC0E80 B00000DD
	ds_read_b64 v[178:179], v221 offset:3840                   // 00000000DC94: D8EC0F00 B20000DD
	ds_read_b64 v[180:181], v221 offset:3968                   // 00000000DC9C: D8EC0F80 B40000DD
	ds_read_b64 v[182:183], v221 offset:4096                   // 00000000DCA4: D8EC1000 B60000DD
	ds_read_b64 v[184:185], v221 offset:4224                   // 00000000DCAC: D8EC1080 B80000DD
	v_mul_f32_e32 v146, v142, v146                             // 00000000DCB4: 0B25258E
	v_mov_b32_e32 v147, 0                                      // 00000000DCB8: 7F260280
	v_pk_add_f32 v[146:147], v[28:29], v[146:147]              // 00000000DCBC: D3B24092 1803251C
	v_pk_add_f32 v[146:147], v[30:31], v[146:147]              // 00000000DCC4: D3B24092 1803251E
	v_pk_add_f32 v[146:147], v[32:33], v[146:147]              // 00000000DCCC: D3B24092 18032520
	v_pk_add_f32 v[146:147], v[34:35], v[146:147]              // 00000000DCD4: D3B24092 18032522
	v_pk_add_f32 v[146:147], v[36:37], v[146:147]              // 00000000DCDC: D3B24092 18032524
	v_pk_add_f32 v[146:147], v[38:39], v[146:147]              // 00000000DCE4: D3B24092 18032526
	v_pk_add_f32 v[146:147], v[40:41], v[146:147]              // 00000000DCEC: D3B24092 18032528
	v_pk_add_f32 v[146:147], v[42:43], v[146:147]              // 00000000DCF4: D3B24092 1803252A
	v_add_f32_e32 v146, v147, v146                             // 00000000DCFC: 03252593
	v_mul_f32_e32 v148, v144, v148                             // 00000000DD00: 0B292990
	v_mov_b32_e32 v149, 0                                      // 00000000DD04: 7F2A0280
	v_pk_add_f32 v[148:149], v[44:45], v[148:149]              // 00000000DD08: D3B24094 1803292C
	v_pk_add_f32 v[148:149], v[46:47], v[148:149]              // 00000000DD10: D3B24094 1803292E
	v_pk_add_f32 v[148:149], v[48:49], v[148:149]              // 00000000DD18: D3B24094 18032930
	v_pk_add_f32 v[148:149], v[50:51], v[148:149]              // 00000000DD20: D3B24094 18032932
	v_pk_add_f32 v[148:149], v[52:53], v[148:149]              // 00000000DD28: D3B24094 18032934
	v_pk_add_f32 v[148:149], v[54:55], v[148:149]              // 00000000DD30: D3B24094 18032936
	v_pk_add_f32 v[148:149], v[56:57], v[148:149]              // 00000000DD38: D3B24094 18032938
	v_pk_add_f32 v[148:149], v[58:59], v[148:149]              // 00000000DD40: D3B24094 1803293A
	v_add_f32_e32 v148, v149, v148                             // 00000000DD48: 03292995
	s_waitcnt lgkmcnt(0)                                       // 00000000DD4C: BF8CC07F
	v_max3_f32 v150, v154, v156, v150                          // 00000000DD50: D1D30096 065B399A
	v_max3_f32 v151, v155, v157, v151                          // 00000000DD58: D1D30097 065F3B9B
	v_max3_f32 v150, v158, v160, v150                          // 00000000DD60: D1D30096 065B419E
	v_max3_f32 v151, v159, v161, v151                          // 00000000DD68: D1D30097 065F439F
	v_max3_f32 v150, v162, v164, v150                          // 00000000DD70: D1D30096 065B49A2
	v_max3_f32 v151, v163, v165, v151                          // 00000000DD78: D1D30097 065F4BA3
	v_max3_f32 v150, v166, v168, v150                          // 00000000DD80: D1D30096 065B51A6
	v_max3_f32 v151, v167, v169, v151                          // 00000000DD88: D1D30097 065F53A7
	v_max3_f32 v150, v170, v172, v150                          // 00000000DD90: D1D30096 065B59AA
	v_max3_f32 v151, v171, v173, v151                          // 00000000DD98: D1D30097 065F5BAB
	v_max3_f32 v150, v174, v176, v150                          // 00000000DDA0: D1D30096 065B61AE
	v_max3_f32 v151, v175, v177, v151                          // 00000000DDA8: D1D30097 065F63AF
	v_max3_f32 v150, v178, v180, v150                          // 00000000DDB0: D1D30096 065B69B2
	v_max3_f32 v151, v179, v181, v151                          // 00000000DDB8: D1D30097 065F6BB3
	v_max3_f32 v150, v182, v184, v150                          // 00000000DDC0: D1D30096 065B71B6
	v_max3_f32 v151, v183, v185, v151                          // 00000000DDC8: D1D30097 065F73B7
	v_rcp_f32_e32 v150, v150                                   // 00000000DDD0: 7F2C4596
	v_rcp_f32_e32 v151, v151                                   // 00000000DDD4: 7F2E4597
	v_mul_f32_e32 v150, 0x43700000, v150                       // 00000000DDD8: 0B2D2CFF 43700000
	v_mul_f32_e32 v151, 0x43700000, v151                       // 00000000DDE0: 0B2F2EFF 43700000
	v_mov_b32_e32 v152, v151                                   // 00000000DDE8: 7F300397
	v_mov_b32_e32 v153, v151                                   // 00000000DDEC: 7F320397
	v_mov_b32_e32 v151, v150                                   // 00000000DDF0: 7F2E0396
	v_pk_mul_f32 v[28:29], v[150:151], v[60:61]                // 00000000DDF4: D3B1401C 18027996
	v_pk_mul_f32 v[30:31], v[150:151], v[62:63]                // 00000000DDFC: D3B1401E 18027D96
	v_pk_mul_f32 v[32:33], v[150:151], v[64:65]                // 00000000DE04: D3B14020 18028196
	v_pk_mul_f32 v[34:35], v[150:151], v[66:67]                // 00000000DE0C: D3B14022 18028596
	v_pk_mul_f32 v[36:37], v[150:151], v[68:69]                // 00000000DE14: D3B14024 18028996
	v_pk_mul_f32 v[38:39], v[150:151], v[70:71]                // 00000000DE1C: D3B14026 18028D96
	v_pk_mul_f32 v[40:41], v[150:151], v[72:73]                // 00000000DE24: D3B14028 18029196
	v_pk_mul_f32 v[42:43], v[150:151], v[74:75]                // 00000000DE2C: D3B1402A 18029596
	v_pk_mul_f32 v[44:45], v[152:153], v[76:77]                // 00000000DE34: D3B1402C 18029998
	v_pk_mul_f32 v[46:47], v[152:153], v[78:79]                // 00000000DE3C: D3B1402E 18029D98
	v_pk_mul_f32 v[48:49], v[152:153], v[80:81]                // 00000000DE44: D3B14030 1802A198
	v_pk_mul_f32 v[50:51], v[152:153], v[82:83]                // 00000000DE4C: D3B14032 1802A598
	v_pk_mul_f32 v[52:53], v[152:153], v[84:85]                // 00000000DE54: D3B14034 1802A998
	v_pk_mul_f32 v[54:55], v[152:153], v[86:87]                // 00000000DE5C: D3B14036 1802AD98
	v_pk_mul_f32 v[56:57], v[152:153], v[88:89]                // 00000000DE64: D3B14038 1802B198
	v_pk_mul_f32 v[58:59], v[152:153], v[90:91]                // 00000000DE6C: D3B1403A 1802B598
	v_cvt_pk_fp8_f32 v28, v28, v29                             // 00000000DE74: D2A2001C 00023B1C
	v_cvt_pk_fp8_f32 v28, v30, v31 op_sel:[0,0,1]              // 00000000DE7C: D2A2401C 00023F1E
	v_cvt_pk_fp8_f32 v29, v32, v33                             // 00000000DE84: D2A2001D 00024320
	v_cvt_pk_fp8_f32 v29, v34, v35 op_sel:[0,0,1]              // 00000000DE8C: D2A2401D 00024722
	v_cvt_pk_fp8_f32 v30, v36, v37                             // 00000000DE94: D2A2001E 00024B24
	v_cvt_pk_fp8_f32 v30, v38, v39 op_sel:[0,0,1]              // 00000000DE9C: D2A2401E 00024F26
	v_cvt_pk_fp8_f32 v31, v40, v41                             // 00000000DEA4: D2A2001F 00025328
	v_cvt_pk_fp8_f32 v31, v42, v43 op_sel:[0,0,1]              // 00000000DEAC: D2A2401F 0002572A
	v_cvt_pk_fp8_f32 v32, v44, v45                             // 00000000DEB4: D2A20020 00025B2C
	v_cvt_pk_fp8_f32 v32, v46, v47 op_sel:[0,0,1]              // 00000000DEBC: D2A24020 00025F2E
	v_cvt_pk_fp8_f32 v33, v48, v49                             // 00000000DEC4: D2A20021 00026330
	v_cvt_pk_fp8_f32 v33, v50, v51 op_sel:[0,0,1]              // 00000000DECC: D2A24021 00026732
	v_cvt_pk_fp8_f32 v34, v52, v53                             // 00000000DED4: D2A20022 00026B34
	v_cvt_pk_fp8_f32 v34, v54, v55 op_sel:[0,0,1]              // 00000000DEDC: D2A24022 00026F36
	v_cvt_pk_fp8_f32 v35, v56, v57                             // 00000000DEE4: D2A20023 00027338
	v_cvt_pk_fp8_f32 v35, v58, v59 op_sel:[0,0,1]              // 00000000DEEC: D2A24023 0002773A
	ds_write_b32 v222, v28 offset:4608                         // 00000000DEF4: D81A1200 00001CDE
	ds_write_b32 v222, v29 offset:5632                         // 00000000DEFC: D81A1600 00001DDE
	ds_write_b32 v222, v30 offset:6656                         // 00000000DF04: D81A1A00 00001EDE
	ds_write_b32 v222, v31 offset:7680                         // 00000000DF0C: D81A1E00 00001FDE
	ds_write_b32 v222, v32 offset:8704                         // 00000000DF14: D81A2200 000020DE
	ds_write_b32 v222, v33 offset:9728                         // 00000000DF1C: D81A2600 000021DE
	ds_write_b32 v222, v34 offset:10752                        // 00000000DF24: D81A2A00 000022DE
	ds_write_b32 v222, v35 offset:11776                        // 00000000DF2C: D81A2E00 000023DE
	v_rcp_f32_e32 v132, v150                                   // 00000000DF34: 7F084596
	v_rcp_f32_e32 v134, v152                                   // 00000000DF38: 7F0C4598
	v_mov_b32_e32 v133, v132                                   // 00000000DF3C: 7F0A0384
	v_mov_b32_e32 v135, v134                                   // 00000000DF40: 7F0E0386
	v_pk_add_f32 v[108:109], v[108:109], v[92:93]              // 00000000DF44: D3B2406C 1802B96C
	v_pk_add_f32 v[110:111], v[110:111], v[94:95]              // 00000000DF4C: D3B2406E 1802BD6E
	v_pk_add_f32 v[112:113], v[112:113], v[96:97]              // 00000000DF54: D3B24070 1802C170
	v_pk_add_f32 v[114:115], v[114:115], v[98:99]              // 00000000DF5C: D3B24072 1802C572
	v_pk_add_f32 v[116:117], v[116:117], v[100:101]            // 00000000DF64: D3B24074 1802C974
	v_pk_add_f32 v[118:119], v[118:119], v[102:103]            // 00000000DF6C: D3B24076 1802CD76
	v_pk_add_f32 v[120:121], v[120:121], v[104:105]            // 00000000DF74: D3B24078 1802D178
	v_pk_add_f32 v[122:123], v[122:123], v[106:107]            // 00000000DF7C: D3B2407A 1802D57A
	s_waitcnt lgkmcnt(0)                                       // 00000000DF84: BF8CC07F
	s_barrier                                                  // 00000000DF88: BF8A0000
	ds_read_b128 v[28:31], v223 offset:4608                    // 00000000DF8C: D9FE1200 1C0000DF
	ds_read_b128 v[32:35], v223 offset:5632                    // 00000000DF94: D9FE1600 200000DF
	ds_read_b128 v[36:39], v223 offset:6656                    // 00000000DF9C: D9FE1A00 240000DF
	ds_read_b128 v[40:43], v223 offset:7680                    // 00000000DFA4: D9FE1E00 280000DF
	ds_read_b128 v[44:47], v223 offset:8704                    // 00000000DFAC: D9FE2200 2C0000DF
	ds_read_b128 v[48:51], v223 offset:9728                    // 00000000DFB4: D9FE2600 300000DF
	ds_read_b128 v[52:55], v223 offset:10752                   // 00000000DFBC: D9FE2A00 340000DF
	ds_read_b128 v[56:59], v223 offset:11776                   // 00000000DFC4: D9FE2E00 380000DF
	s_waitcnt vmcnt(10)                                        // 00000000DFCC: BF8C0F7A
	v_lshrrev_b32_e32 v136, 4, v0                              // 00000000DFD0: 21100084
	v_lshlrev_b32_e32 v136, 4, v136                            // 00000000DFD4: 25111084
	v_add_u32_e32 v186, s64, v136                              // 00000000DFD8: 69751040
	v_add_u32_e32 v186, 4, v186                                // 00000000DFDC: 69757484
	v_sub_i32 v186, v186, s62                                  // 00000000DFE0: D29D00BA 00007DBA
	s_mov_b32 s54, 0                                           // 00000000DFE8: BEB60080
	v_add_i32 v187, s54, v186                                  // 00000000DFEC: D29C00BB 00037436
	v_cmp_lt_i32_e64 vcc, v187, 4                              // 00000000DFF4: D0C1006A 000109BB
	v_min_u32_e32 v187, 4, v187                                // 00000000DFFC: 1D777684
	v_lshlrev_b32_e32 v187, 3, v187                            // 00000000E000: 25777683
	v_lshrrev_b32_e64 v188, v187, -1                           // 00000000E004: D11000BC 000183BB
	v_accvgpr_read_b32 v189, a64                               // 00000000E00C: D3D840BD 18000140
	v_cndmask_b32_e32 v189, 0, v189, vcc                       // 00000000E014: 017B7A80
	v_and_b32_e32 v189, v189, v188                             // 00000000E018: 277B79BD
	v_accvgpr_write_b32 a64, v189                              // 00000000E01C: D3D94040 180001BD
	v_accvgpr_read_b32 v189, a80                               // 00000000E024: D3D840BD 18000150
	v_cndmask_b32_e32 v189, 0, v189, vcc                       // 00000000E02C: 017B7A80
	v_and_b32_e32 v189, v189, v188                             // 00000000E030: 277B79BD
	v_accvgpr_write_b32 a80, v189                              // 00000000E034: D3D94050 180001BD
	s_mov_b32 s54, 4                                           // 00000000E03C: BEB60084
	v_add_i32 v187, s54, v186                                  // 00000000E040: D29C00BB 00037436
	v_cmp_lt_i32_e64 vcc, v187, 4                              // 00000000E048: D0C1006A 000109BB
	v_min_u32_e32 v187, 4, v187                                // 00000000E050: 1D777684
	v_lshlrev_b32_e32 v187, 3, v187                            // 00000000E054: 25777683
	v_lshrrev_b32_e64 v188, v187, -1                           // 00000000E058: D11000BC 000183BB
	v_accvgpr_read_b32 v189, a65                               // 00000000E060: D3D840BD 18000141
	v_cndmask_b32_e32 v189, 0, v189, vcc                       // 00000000E068: 017B7A80
	v_and_b32_e32 v189, v189, v188                             // 00000000E06C: 277B79BD
	v_accvgpr_write_b32 a65, v189                              // 00000000E070: D3D94041 180001BD
	v_accvgpr_read_b32 v189, a81                               // 00000000E078: D3D840BD 18000151
	v_cndmask_b32_e32 v189, 0, v189, vcc                       // 00000000E080: 017B7A80
	v_and_b32_e32 v189, v189, v188                             // 00000000E084: 277B79BD
	v_accvgpr_write_b32 a81, v189                              // 00000000E088: D3D94051 180001BD
	s_mov_b32 s54, 8                                           // 00000000E090: BEB60088
	v_add_i32 v187, s54, v186                                  // 00000000E094: D29C00BB 00037436
	v_cmp_lt_i32_e64 vcc, v187, 4                              // 00000000E09C: D0C1006A 000109BB
	v_min_u32_e32 v187, 4, v187                                // 00000000E0A4: 1D777684
	v_lshlrev_b32_e32 v187, 3, v187                            // 00000000E0A8: 25777683
	v_lshrrev_b32_e64 v188, v187, -1                           // 00000000E0AC: D11000BC 000183BB
	v_accvgpr_read_b32 v189, a66                               // 00000000E0B4: D3D840BD 18000142
	v_cndmask_b32_e32 v189, 0, v189, vcc                       // 00000000E0BC: 017B7A80
	v_and_b32_e32 v189, v189, v188                             // 00000000E0C0: 277B79BD
	v_accvgpr_write_b32 a66, v189                              // 00000000E0C4: D3D94042 180001BD
	v_accvgpr_read_b32 v189, a82                               // 00000000E0CC: D3D840BD 18000152
	v_cndmask_b32_e32 v189, 0, v189, vcc                       // 00000000E0D4: 017B7A80
	v_and_b32_e32 v189, v189, v188                             // 00000000E0D8: 277B79BD
	v_accvgpr_write_b32 a82, v189                              // 00000000E0DC: D3D94052 180001BD
	s_mov_b32 s54, 12                                          // 00000000E0E4: BEB6008C
	v_add_i32 v187, s54, v186                                  // 00000000E0E8: D29C00BB 00037436
	v_cmp_lt_i32_e64 vcc, v187, 4                              // 00000000E0F0: D0C1006A 000109BB
	v_min_u32_e32 v187, 4, v187                                // 00000000E0F8: 1D777684
	v_lshlrev_b32_e32 v187, 3, v187                            // 00000000E0FC: 25777683
	v_lshrrev_b32_e64 v188, v187, -1                           // 00000000E100: D11000BC 000183BB
	v_accvgpr_read_b32 v189, a67                               // 00000000E108: D3D840BD 18000143
	v_cndmask_b32_e32 v189, 0, v189, vcc                       // 00000000E110: 017B7A80
	v_and_b32_e32 v189, v189, v188                             // 00000000E114: 277B79BD
	v_accvgpr_write_b32 a67, v189                              // 00000000E118: D3D94043 180001BD
	v_accvgpr_read_b32 v189, a83                               // 00000000E120: D3D840BD 18000153
	v_cndmask_b32_e32 v189, 0, v189, vcc                       // 00000000E128: 017B7A80
	v_and_b32_e32 v189, v189, v188                             // 00000000E12C: 277B79BD
	v_accvgpr_write_b32 a83, v189                              // 00000000E130: D3D94053 180001BD
	s_mov_b32 s54, 64                                          // 00000000E138: BEB600C0
	v_add_i32 v187, s54, v186                                  // 00000000E13C: D29C00BB 00037436
	v_cmp_lt_i32_e64 vcc, v187, 4                              // 00000000E144: D0C1006A 000109BB
	v_min_u32_e32 v187, 4, v187                                // 00000000E14C: 1D777684
	v_lshlrev_b32_e32 v187, 3, v187                            // 00000000E150: 25777683
	v_lshrrev_b32_e64 v188, v187, -1                           // 00000000E154: D11000BC 000183BB
	v_accvgpr_read_b32 v189, a68                               // 00000000E15C: D3D840BD 18000144
	v_cndmask_b32_e32 v189, 0, v189, vcc                       // 00000000E164: 017B7A80
	v_and_b32_e32 v189, v189, v188                             // 00000000E168: 277B79BD
	v_accvgpr_write_b32 a68, v189                              // 00000000E16C: D3D94044 180001BD
	v_accvgpr_read_b32 v189, a84                               // 00000000E174: D3D840BD 18000154
	v_cndmask_b32_e32 v189, 0, v189, vcc                       // 00000000E17C: 017B7A80
	v_and_b32_e32 v189, v189, v188                             // 00000000E180: 277B79BD
	v_accvgpr_write_b32 a84, v189                              // 00000000E184: D3D94054 180001BD
	s_mov_b32 s54, 0x44                                        // 00000000E18C: BEB600FF 00000044
	v_add_i32 v187, s54, v186                                  // 00000000E194: D29C00BB 00037436
	v_cmp_lt_i32_e64 vcc, v187, 4                              // 00000000E19C: D0C1006A 000109BB
	v_min_u32_e32 v187, 4, v187                                // 00000000E1A4: 1D777684
	v_lshlrev_b32_e32 v187, 3, v187                            // 00000000E1A8: 25777683
	v_lshrrev_b32_e64 v188, v187, -1                           // 00000000E1AC: D11000BC 000183BB
	v_accvgpr_read_b32 v189, a69                               // 00000000E1B4: D3D840BD 18000145
	v_cndmask_b32_e32 v189, 0, v189, vcc                       // 00000000E1BC: 017B7A80
	v_and_b32_e32 v189, v189, v188                             // 00000000E1C0: 277B79BD
	v_accvgpr_write_b32 a69, v189                              // 00000000E1C4: D3D94045 180001BD
	v_accvgpr_read_b32 v189, a85                               // 00000000E1CC: D3D840BD 18000155
	v_cndmask_b32_e32 v189, 0, v189, vcc                       // 00000000E1D4: 017B7A80
	v_and_b32_e32 v189, v189, v188                             // 00000000E1D8: 277B79BD
	v_accvgpr_write_b32 a85, v189                              // 00000000E1DC: D3D94055 180001BD
	s_mov_b32 s54, 0x48                                        // 00000000E1E4: BEB600FF 00000048
	v_add_i32 v187, s54, v186                                  // 00000000E1EC: D29C00BB 00037436
	v_cmp_lt_i32_e64 vcc, v187, 4                              // 00000000E1F4: D0C1006A 000109BB
	v_min_u32_e32 v187, 4, v187                                // 00000000E1FC: 1D777684
	v_lshlrev_b32_e32 v187, 3, v187                            // 00000000E200: 25777683
	v_lshrrev_b32_e64 v188, v187, -1                           // 00000000E204: D11000BC 000183BB
	v_accvgpr_read_b32 v189, a70                               // 00000000E20C: D3D840BD 18000146
	v_cndmask_b32_e32 v189, 0, v189, vcc                       // 00000000E214: 017B7A80
	v_and_b32_e32 v189, v189, v188                             // 00000000E218: 277B79BD
	v_accvgpr_write_b32 a70, v189                              // 00000000E21C: D3D94046 180001BD
	v_accvgpr_read_b32 v189, a86                               // 00000000E224: D3D840BD 18000156
	v_cndmask_b32_e32 v189, 0, v189, vcc                       // 00000000E22C: 017B7A80
	v_and_b32_e32 v189, v189, v188                             // 00000000E230: 277B79BD
	v_accvgpr_write_b32 a86, v189                              // 00000000E234: D3D94056 180001BD
	s_mov_b32 s54, 0x4c                                        // 00000000E23C: BEB600FF 0000004C
	v_add_i32 v187, s54, v186                                  // 00000000E244: D29C00BB 00037436
	v_cmp_lt_i32_e64 vcc, v187, 4                              // 00000000E24C: D0C1006A 000109BB
	v_min_u32_e32 v187, 4, v187                                // 00000000E254: 1D777684
	v_lshlrev_b32_e32 v187, 3, v187                            // 00000000E258: 25777683
	v_lshrrev_b32_e64 v188, v187, -1                           // 00000000E25C: D11000BC 000183BB
	v_accvgpr_read_b32 v189, a71                               // 00000000E264: D3D840BD 18000147
	v_cndmask_b32_e32 v189, 0, v189, vcc                       // 00000000E26C: 017B7A80
	v_and_b32_e32 v189, v189, v188                             // 00000000E270: 277B79BD
	v_accvgpr_write_b32 a71, v189                              // 00000000E274: D3D94047 180001BD
	v_accvgpr_read_b32 v189, a87                               // 00000000E27C: D3D840BD 18000157
	v_cndmask_b32_e32 v189, 0, v189, vcc                       // 00000000E284: 017B7A80
	v_and_b32_e32 v189, v189, v188                             // 00000000E288: 277B79BD
	v_accvgpr_write_b32 a87, v189                              // 00000000E28C: D3D94057 180001BD
	s_mov_b32 s54, 0x80                                        // 00000000E294: BEB600FF 00000080
	v_add_i32 v187, s54, v186                                  // 00000000E29C: D29C00BB 00037436
	v_cmp_lt_i32_e64 vcc, v187, 4                              // 00000000E2A4: D0C1006A 000109BB
	v_min_u32_e32 v187, 4, v187                                // 00000000E2AC: 1D777684
	v_lshlrev_b32_e32 v187, 3, v187                            // 00000000E2B0: 25777683
	v_lshrrev_b32_e64 v188, v187, -1                           // 00000000E2B4: D11000BC 000183BB
	v_accvgpr_read_b32 v189, a72                               // 00000000E2BC: D3D840BD 18000148
	v_cndmask_b32_e32 v189, 0, v189, vcc                       // 00000000E2C4: 017B7A80
	v_and_b32_e32 v189, v189, v188                             // 00000000E2C8: 277B79BD
	v_accvgpr_write_b32 a72, v189                              // 00000000E2CC: D3D94048 180001BD
	v_accvgpr_read_b32 v189, a88                               // 00000000E2D4: D3D840BD 18000158
	v_cndmask_b32_e32 v189, 0, v189, vcc                       // 00000000E2DC: 017B7A80
	v_and_b32_e32 v189, v189, v188                             // 00000000E2E0: 277B79BD
	v_accvgpr_write_b32 a88, v189                              // 00000000E2E4: D3D94058 180001BD
	s_mov_b32 s54, 0x84                                        // 00000000E2EC: BEB600FF 00000084
	v_add_i32 v187, s54, v186                                  // 00000000E2F4: D29C00BB 00037436
	v_cmp_lt_i32_e64 vcc, v187, 4                              // 00000000E2FC: D0C1006A 000109BB
	v_min_u32_e32 v187, 4, v187                                // 00000000E304: 1D777684
	v_lshlrev_b32_e32 v187, 3, v187                            // 00000000E308: 25777683
	v_lshrrev_b32_e64 v188, v187, -1                           // 00000000E30C: D11000BC 000183BB
	v_accvgpr_read_b32 v189, a73                               // 00000000E314: D3D840BD 18000149
	v_cndmask_b32_e32 v189, 0, v189, vcc                       // 00000000E31C: 017B7A80
	v_and_b32_e32 v189, v189, v188                             // 00000000E320: 277B79BD
	v_accvgpr_write_b32 a73, v189                              // 00000000E324: D3D94049 180001BD
	v_accvgpr_read_b32 v189, a89                               // 00000000E32C: D3D840BD 18000159
	v_cndmask_b32_e32 v189, 0, v189, vcc                       // 00000000E334: 017B7A80
	v_and_b32_e32 v189, v189, v188                             // 00000000E338: 277B79BD
	v_accvgpr_write_b32 a89, v189                              // 00000000E33C: D3D94059 180001BD
	s_mov_b32 s54, 0x88                                        // 00000000E344: BEB600FF 00000088
	v_add_i32 v187, s54, v186                                  // 00000000E34C: D29C00BB 00037436
	v_cmp_lt_i32_e64 vcc, v187, 4                              // 00000000E354: D0C1006A 000109BB
	v_min_u32_e32 v187, 4, v187                                // 00000000E35C: 1D777684
	v_lshlrev_b32_e32 v187, 3, v187                            // 00000000E360: 25777683
	v_lshrrev_b32_e64 v188, v187, -1                           // 00000000E364: D11000BC 000183BB
	v_accvgpr_read_b32 v189, a74                               // 00000000E36C: D3D840BD 1800014A
	v_cndmask_b32_e32 v189, 0, v189, vcc                       // 00000000E374: 017B7A80
	v_and_b32_e32 v189, v189, v188                             // 00000000E378: 277B79BD
	v_accvgpr_write_b32 a74, v189                              // 00000000E37C: D3D9404A 180001BD
	v_accvgpr_read_b32 v189, a90                               // 00000000E384: D3D840BD 1800015A
	v_cndmask_b32_e32 v189, 0, v189, vcc                       // 00000000E38C: 017B7A80
	v_and_b32_e32 v189, v189, v188                             // 00000000E390: 277B79BD
	v_accvgpr_write_b32 a90, v189                              // 00000000E394: D3D9405A 180001BD
	s_mov_b32 s54, 0x8c                                        // 00000000E39C: BEB600FF 0000008C
	v_add_i32 v187, s54, v186                                  // 00000000E3A4: D29C00BB 00037436
	v_cmp_lt_i32_e64 vcc, v187, 4                              // 00000000E3AC: D0C1006A 000109BB
	v_min_u32_e32 v187, 4, v187                                // 00000000E3B4: 1D777684
	v_lshlrev_b32_e32 v187, 3, v187                            // 00000000E3B8: 25777683
	v_lshrrev_b32_e64 v188, v187, -1                           // 00000000E3BC: D11000BC 000183BB
	v_accvgpr_read_b32 v189, a75                               // 00000000E3C4: D3D840BD 1800014B
	v_cndmask_b32_e32 v189, 0, v189, vcc                       // 00000000E3CC: 017B7A80
	v_and_b32_e32 v189, v189, v188                             // 00000000E3D0: 277B79BD
	v_accvgpr_write_b32 a75, v189                              // 00000000E3D4: D3D9404B 180001BD
	v_accvgpr_read_b32 v189, a91                               // 00000000E3DC: D3D840BD 1800015B
	v_cndmask_b32_e32 v189, 0, v189, vcc                       // 00000000E3E4: 017B7A80
	v_and_b32_e32 v189, v189, v188                             // 00000000E3E8: 277B79BD
	v_accvgpr_write_b32 a91, v189                              // 00000000E3EC: D3D9405B 180001BD
	s_mov_b32 s54, 0xc0                                        // 00000000E3F4: BEB600FF 000000C0
	v_add_i32 v187, s54, v186                                  // 00000000E3FC: D29C00BB 00037436
	v_cmp_lt_i32_e64 vcc, v187, 4                              // 00000000E404: D0C1006A 000109BB
	v_min_u32_e32 v187, 4, v187                                // 00000000E40C: 1D777684
	v_lshlrev_b32_e32 v187, 3, v187                            // 00000000E410: 25777683
	v_lshrrev_b32_e64 v188, v187, -1                           // 00000000E414: D11000BC 000183BB
	v_accvgpr_read_b32 v189, a76                               // 00000000E41C: D3D840BD 1800014C
	v_cndmask_b32_e32 v189, 0, v189, vcc                       // 00000000E424: 017B7A80
	v_and_b32_e32 v189, v189, v188                             // 00000000E428: 277B79BD
	v_accvgpr_write_b32 a76, v189                              // 00000000E42C: D3D9404C 180001BD
	v_accvgpr_read_b32 v189, a92                               // 00000000E434: D3D840BD 1800015C
	v_cndmask_b32_e32 v189, 0, v189, vcc                       // 00000000E43C: 017B7A80
	v_and_b32_e32 v189, v189, v188                             // 00000000E440: 277B79BD
	v_accvgpr_write_b32 a92, v189                              // 00000000E444: D3D9405C 180001BD
	s_mov_b32 s54, 0xc4                                        // 00000000E44C: BEB600FF 000000C4
	v_add_i32 v187, s54, v186                                  // 00000000E454: D29C00BB 00037436
	v_cmp_lt_i32_e64 vcc, v187, 4                              // 00000000E45C: D0C1006A 000109BB
	v_min_u32_e32 v187, 4, v187                                // 00000000E464: 1D777684
	v_lshlrev_b32_e32 v187, 3, v187                            // 00000000E468: 25777683
	v_lshrrev_b32_e64 v188, v187, -1                           // 00000000E46C: D11000BC 000183BB
	v_accvgpr_read_b32 v189, a77                               // 00000000E474: D3D840BD 1800014D
	v_cndmask_b32_e32 v189, 0, v189, vcc                       // 00000000E47C: 017B7A80
	v_and_b32_e32 v189, v189, v188                             // 00000000E480: 277B79BD
	v_accvgpr_write_b32 a77, v189                              // 00000000E484: D3D9404D 180001BD
	v_accvgpr_read_b32 v189, a93                               // 00000000E48C: D3D840BD 1800015D
	v_cndmask_b32_e32 v189, 0, v189, vcc                       // 00000000E494: 017B7A80
	v_and_b32_e32 v189, v189, v188                             // 00000000E498: 277B79BD
	v_accvgpr_write_b32 a93, v189                              // 00000000E49C: D3D9405D 180001BD
	s_mov_b32 s54, 0xc8                                        // 00000000E4A4: BEB600FF 000000C8
	v_add_i32 v187, s54, v186                                  // 00000000E4AC: D29C00BB 00037436
	v_cmp_lt_i32_e64 vcc, v187, 4                              // 00000000E4B4: D0C1006A 000109BB
	v_min_u32_e32 v187, 4, v187                                // 00000000E4BC: 1D777684
	v_lshlrev_b32_e32 v187, 3, v187                            // 00000000E4C0: 25777683
	v_lshrrev_b32_e64 v188, v187, -1                           // 00000000E4C4: D11000BC 000183BB
	v_accvgpr_read_b32 v189, a78                               // 00000000E4CC: D3D840BD 1800014E
	v_cndmask_b32_e32 v189, 0, v189, vcc                       // 00000000E4D4: 017B7A80
	v_and_b32_e32 v189, v189, v188                             // 00000000E4D8: 277B79BD
	v_accvgpr_write_b32 a78, v189                              // 00000000E4DC: D3D9404E 180001BD
	v_accvgpr_read_b32 v189, a94                               // 00000000E4E4: D3D840BD 1800015E
	v_cndmask_b32_e32 v189, 0, v189, vcc                       // 00000000E4EC: 017B7A80
	v_and_b32_e32 v189, v189, v188                             // 00000000E4F0: 277B79BD
	v_accvgpr_write_b32 a94, v189                              // 00000000E4F4: D3D9405E 180001BD
	s_mov_b32 s54, 0xcc                                        // 00000000E4FC: BEB600FF 000000CC
	v_add_i32 v187, s54, v186                                  // 00000000E504: D29C00BB 00037436
	v_cmp_lt_i32_e64 vcc, v187, 4                              // 00000000E50C: D0C1006A 000109BB
	v_min_u32_e32 v187, 4, v187                                // 00000000E514: 1D777684
	v_lshlrev_b32_e32 v187, 3, v187                            // 00000000E518: 25777683
	v_lshrrev_b32_e64 v188, v187, -1                           // 00000000E51C: D11000BC 000183BB
	v_accvgpr_read_b32 v189, a79                               // 00000000E524: D3D840BD 1800014F
	v_cndmask_b32_e32 v189, 0, v189, vcc                       // 00000000E52C: 017B7A80
	v_and_b32_e32 v189, v189, v188                             // 00000000E530: 277B79BD
	v_accvgpr_write_b32 a79, v189                              // 00000000E534: D3D9404F 180001BD
	v_accvgpr_read_b32 v189, a95                               // 00000000E53C: D3D840BD 1800015F
	v_cndmask_b32_e32 v189, 0, v189, vcc                       // 00000000E544: 017B7A80
	v_and_b32_e32 v189, v189, v188                             // 00000000E548: 277B79BD
	v_accvgpr_write_b32 a95, v189                              // 00000000E54C: D3D9405F 180001BD
	s_waitcnt lgkmcnt(7)                                       // 00000000E554: BF8CC77F
	v_mfma_f32_16x16x32_fp8_fp8 v[92:95], a[64:65], v[28:29], 0// 00000000E558: D3F3005C 0A023940
	v_mfma_f32_16x16x32_fp8_fp8 v[96:99], a[80:81], v[28:29], 0// 00000000E560: D3F30060 0A023950
	v_mfma_f32_16x16x32_fp8_fp8 v[92:95], a[66:67], v[30:31], v[92:95]// 00000000E568: D3F3005C 0D723D42
	buffer_load_dwordx4 a[96:99], v204, s[16:19], 0 offen      // 00000000E570: E05C1000 808460CC
	v_mfma_f32_16x16x32_fp8_fp8 v[96:99], a[82:83], v[30:31], v[96:99]// 00000000E578: D3F30060 0D823D52
	s_waitcnt lgkmcnt(6)                                       // 00000000E580: BF8CC67F
	v_mfma_f32_16x16x32_fp8_fp8 v[92:95], a[68:69], v[32:33], v[92:95]// 00000000E584: D3F3005C 0D724144
	v_mfma_f32_16x16x32_fp8_fp8 v[96:99], a[84:85], v[32:33], v[96:99]// 00000000E58C: D3F30060 0D824154
	v_mfma_f32_16x16x32_fp8_fp8 v[92:95], a[70:71], v[34:35], v[92:95]// 00000000E594: D3F3005C 0D724546
	buffer_load_dwordx4 a[100:103], v205, s[16:19], 0 offen    // 00000000E59C: E05C1000 808464CD
	v_mfma_f32_16x16x32_fp8_fp8 v[96:99], a[86:87], v[34:35], v[96:99]// 00000000E5A4: D3F30060 0D824556
	s_waitcnt lgkmcnt(5)                                       // 00000000E5AC: BF8CC57F
	v_mfma_f32_16x16x32_fp8_fp8 v[92:95], a[72:73], v[36:37], v[92:95]// 00000000E5B0: D3F3005C 0D724948
	v_mfma_f32_16x16x32_fp8_fp8 v[96:99], a[88:89], v[36:37], v[96:99]// 00000000E5B8: D3F30060 0D824958
	v_mfma_f32_16x16x32_fp8_fp8 v[92:95], a[74:75], v[38:39], v[92:95]// 00000000E5C0: D3F3005C 0D724D4A
	buffer_load_dwordx4 a[104:107], v206, s[16:19], 0 offen    // 00000000E5C8: E05C1000 808468CE
	v_mfma_f32_16x16x32_fp8_fp8 v[96:99], a[90:91], v[38:39], v[96:99]// 00000000E5D0: D3F30060 0D824D5A
	s_waitcnt lgkmcnt(4)                                       // 00000000E5D8: BF8CC47F
	v_mfma_f32_16x16x32_fp8_fp8 v[92:95], a[76:77], v[40:41], v[92:95]// 00000000E5DC: D3F3005C 0D72514C
	v_mfma_f32_16x16x32_fp8_fp8 v[96:99], a[92:93], v[40:41], v[96:99]// 00000000E5E4: D3F30060 0D82515C
	v_mfma_f32_16x16x32_fp8_fp8 v[92:95], a[78:79], v[42:43], v[92:95]// 00000000E5EC: D3F3005C 0D72554E
	buffer_load_dwordx4 a[108:111], v207, s[16:19], 0 offen    // 00000000E5F4: E05C1000 80846CCF
	v_mfma_f32_16x16x32_fp8_fp8 v[96:99], a[94:95], v[42:43], v[96:99]// 00000000E5FC: D3F30060 0D82555E
	s_waitcnt lgkmcnt(3)                                       // 00000000E604: BF8CC37F
	v_mfma_f32_16x16x32_fp8_fp8 v[100:103], a[64:65], v[44:45], 0// 00000000E608: D3F30064 0A025940
	v_mfma_f32_16x16x32_fp8_fp8 v[104:107], a[80:81], v[44:45], 0// 00000000E610: D3F30068 0A025950
	v_mfma_f32_16x16x32_fp8_fp8 v[100:103], a[66:67], v[46:47], v[100:103]// 00000000E618: D3F30064 0D925D42
	buffer_load_dwordx4 a[112:115], v204, s[16:19], 0 offen offset:1024// 00000000E620: E05C1400 808470CC
	v_mfma_f32_16x16x32_fp8_fp8 v[104:107], a[82:83], v[46:47], v[104:107]// 00000000E628: D3F30068 0DA25D52
	s_waitcnt lgkmcnt(2)                                       // 00000000E630: BF8CC27F
	v_mfma_f32_16x16x32_fp8_fp8 v[100:103], a[68:69], v[48:49], v[100:103]// 00000000E634: D3F30064 0D926144
	v_mfma_f32_16x16x32_fp8_fp8 v[104:107], a[84:85], v[48:49], v[104:107]// 00000000E63C: D3F30068 0DA26154
	v_mfma_f32_16x16x32_fp8_fp8 v[100:103], a[70:71], v[50:51], v[100:103]// 00000000E644: D3F30064 0D926546
	buffer_load_dwordx4 a[116:119], v205, s[16:19], 0 offen offset:1024// 00000000E64C: E05C1400 808474CD
	v_mfma_f32_16x16x32_fp8_fp8 v[104:107], a[86:87], v[50:51], v[104:107]// 00000000E654: D3F30068 0DA26556
	s_waitcnt lgkmcnt(1)                                       // 00000000E65C: BF8CC17F
	v_mfma_f32_16x16x32_fp8_fp8 v[100:103], a[72:73], v[52:53], v[100:103]// 00000000E660: D3F30064 0D926948
	v_mfma_f32_16x16x32_fp8_fp8 v[104:107], a[88:89], v[52:53], v[104:107]// 00000000E668: D3F30068 0DA26958
	v_mfma_f32_16x16x32_fp8_fp8 v[100:103], a[74:75], v[54:55], v[100:103]// 00000000E670: D3F30064 0D926D4A
	buffer_load_dwordx4 a[120:123], v206, s[16:19], 0 offen offset:1024// 00000000E678: E05C1400 808478CE
	v_mfma_f32_16x16x32_fp8_fp8 v[104:107], a[90:91], v[54:55], v[104:107]// 00000000E680: D3F30068 0DA26D5A
	s_waitcnt lgkmcnt(0)                                       // 00000000E688: BF8CC07F
	v_mfma_f32_16x16x32_fp8_fp8 v[100:103], a[76:77], v[56:57], v[100:103]// 00000000E68C: D3F30064 0D92714C
	v_mfma_f32_16x16x32_fp8_fp8 v[104:107], a[92:93], v[56:57], v[104:107]// 00000000E694: D3F30068 0DA2715C
	v_mfma_f32_16x16x32_fp8_fp8 v[100:103], a[78:79], v[58:59], v[100:103]// 00000000E69C: D3F30064 0D92754E
	buffer_load_dwordx4 a[124:127], v207, s[16:19], 0 offen offset:1024// 00000000E6A4: E05C1400 80847CCF
	v_mfma_f32_16x16x32_fp8_fp8 v[104:107], a[94:95], v[58:59], v[104:107]// 00000000E6AC: D3F30068 0DA2755E
	s_addk_i32 s64, 0x100                                      // 00000000E6B4: B7400100

000000000000e6b8 <label_2FAE>:
	s_cmp_lt_i32 s64, s62                                      // 00000000E6B8: BF043E40
	s_cbranch_scc0 label_3592                                  // 00000000E6BC: BF8405E2
	s_waitcnt vmcnt(10)                                        // 00000000E6C0: BF8C0F7A
	v_mfma_f32_16x16x32_fp8_fp8 v[28:31], a[32:33], v[12:13], 0// 00000000E6C4: D3F3001C 0A021920
	s_add_u32 s12, s86, s69                                    // 00000000E6CC: 800C4556
	s_addc_u32 s13, s87, 0                                     // 00000000E6D0: 820D8057
	v_mfma_f32_16x16x32_fp8_fp8 v[28:31], a[34:35], v[14:15], v[28:31]// 00000000E6D4: D3F3001C 0C721D22
	s_add_u32 s16, s88, s70                                    // 00000000E6DC: 80104658
	s_addc_u32 s17, s89, 0                                     // 00000000E6E0: 82118059
	v_mfma_f32_16x16x32_fp8_fp8 v[28:31], a[36:37], v[16:17], v[28:31]// 00000000E6E4: D3F3001C 0C722124
	buffer_load_dwordx4 a[0:3], v202, s[12:15], 0 offen        // 00000000E6EC: E05C1000 808300CA
	v_mfma_f32_16x16x32_fp8_fp8 v[28:31], a[38:39], v[18:19], v[28:31]// 00000000E6F4: D3F3001C 0C722526
	s_add_u32 s20, s90, s71                                    // 00000000E6FC: 8014475A
	s_addc_u32 s21, s91, 0                                     // 00000000E700: 8215805B
	v_mfma_f32_16x16x32_fp8_fp8 v[32:35], a[40:41], v[12:13], 0// 00000000E704: D3F30020 0A021928
	s_add_u32 s24, s92, s71                                    // 00000000E70C: 8018475C
	s_addc_u32 s25, s93, 0                                     // 00000000E710: 8219805D
	v_mfma_f32_16x16x32_fp8_fp8 v[32:35], a[42:43], v[14:15], v[32:35]// 00000000E714: D3F30020 0C821D2A
	s_add_u32 s69, s69, 0x1000                                 // 00000000E71C: 8045FF45 00001000
	s_add_u32 s70, s70, 0x8000                                 // 00000000E724: 8046FF46 00008000
	v_mfma_f32_16x16x32_fp8_fp8 v[32:35], a[44:45], v[16:17], v[32:35]// 00000000E72C: D3F30020 0C82212C
	buffer_load_dwordx4 a[4:7], v203, s[12:15], 0 offen        // 00000000E734: E05C1000 808304CB
	v_mfma_f32_16x16x32_fp8_fp8 v[32:35], a[46:47], v[18:19], v[32:35]// 00000000E73C: D3F30020 0C82252E
	s_add_u32 s71, s71, 0x400                                  // 00000000E744: 8047FF47 00000400
	v_mfma_f32_16x16x32_fp8_fp8 v[36:39], a[48:49], v[12:13], 0// 00000000E74C: D3F30024 0A021930
	v_mfma_f32_16x16x32_fp8_fp8 v[36:39], a[50:51], v[14:15], v[36:39]// 00000000E754: D3F30024 0C921D32
	v_mfma_f32_16x16x32_fp8_fp8 v[36:39], a[52:53], v[16:17], v[36:39]// 00000000E75C: D3F30024 0C922134
	buffer_load_dwordx4 a[8:11], v202, s[12:15], 0 offen offset:1024// 00000000E764: E05C1400 808308CA
	v_mfma_f32_16x16x32_fp8_fp8 v[36:39], a[54:55], v[18:19], v[36:39]// 00000000E76C: D3F30024 0C922536
	v_mfma_f32_16x16x32_fp8_fp8 v[40:43], a[56:57], v[12:13], 0// 00000000E774: D3F30028 0A021938
	v_mfma_f32_16x16x32_fp8_fp8 v[40:43], a[58:59], v[14:15], v[40:43]// 00000000E77C: D3F30028 0CA21D3A
	v_mfma_f32_16x16x32_fp8_fp8 v[40:43], a[60:61], v[16:17], v[40:43]// 00000000E784: D3F30028 0CA2213C
	buffer_load_dwordx4 a[12:15], v203, s[12:15], 0 offen offset:1024// 00000000E78C: E05C1400 80830CCB
	v_mfma_f32_16x16x32_fp8_fp8 v[40:43], a[62:63], v[18:19], v[40:43]// 00000000E794: D3F30028 0CA2253E
	v_mfma_f32_16x16x32_fp8_fp8 v[44:47], a[32:33], v[20:21], 0// 00000000E79C: D3F3002C 0A022920
	v_mfma_f32_16x16x32_fp8_fp8 v[44:47], a[34:35], v[22:23], v[44:47]// 00000000E7A4: D3F3002C 0CB22D22
	v_mfma_f32_16x16x32_fp8_fp8 v[44:47], a[36:37], v[24:25], v[44:47]// 00000000E7AC: D3F3002C 0CB23124
	buffer_load_dwordx4 a[16:19], v202, s[12:15], 0 offen offset:2048// 00000000E7B4: E05C1800 808310CA
	v_mfma_f32_16x16x32_fp8_fp8 v[44:47], a[38:39], v[26:27], v[44:47]// 00000000E7BC: D3F3002C 0CB23526
	v_mfma_f32_16x16x32_fp8_fp8 v[48:51], a[40:41], v[20:21], 0// 00000000E7C4: D3F30030 0A022928
	v_mfma_f32_16x16x32_fp8_fp8 v[48:51], a[42:43], v[22:23], v[48:51]// 00000000E7CC: D3F30030 0CC22D2A
	v_mfma_f32_16x16x32_fp8_fp8 v[48:51], a[44:45], v[24:25], v[48:51]// 00000000E7D4: D3F30030 0CC2312C
	buffer_load_dwordx4 a[20:23], v203, s[12:15], 0 offen offset:2048// 00000000E7DC: E05C1800 808314CB
	v_mfma_f32_16x16x32_fp8_fp8 v[48:51], a[46:47], v[26:27], v[48:51]// 00000000E7E4: D3F30030 0CC2352E
	v_mfma_f32_16x16x32_fp8_fp8 v[52:55], a[48:49], v[20:21], 0// 00000000E7EC: D3F30034 0A022930
	v_mfma_f32_16x16x32_fp8_fp8 v[52:55], a[50:51], v[22:23], v[52:55]// 00000000E7F4: D3F30034 0CD22D32
	v_mfma_f32_16x16x32_fp8_fp8 v[52:55], a[52:53], v[24:25], v[52:55]// 00000000E7FC: D3F30034 0CD23134
	buffer_load_dwordx4 a[24:27], v202, s[12:15], 0 offen offset:3072// 00000000E804: E05C1C00 808318CA
	v_mfma_f32_16x16x32_fp8_fp8 v[52:55], a[54:55], v[26:27], v[52:55]// 00000000E80C: D3F30034 0CD23536
	v_mfma_f32_16x16x32_fp8_fp8 v[56:59], a[56:57], v[20:21], 0// 00000000E814: D3F30038 0A022938
	v_mfma_f32_16x16x32_fp8_fp8 v[56:59], a[58:59], v[22:23], v[56:59]// 00000000E81C: D3F30038 0CE22D3A
	v_mfma_f32_16x16x32_fp8_fp8 v[56:59], a[60:61], v[24:25], v[56:59]// 00000000E824: D3F30038 0CE2313C
	buffer_load_dwordx4 a[28:31], v203, s[12:15], 0 offen offset:3072// 00000000E82C: E05C1C00 80831CCB
	v_mfma_f32_16x16x32_fp8_fp8 v[56:59], a[62:63], v[26:27], v[56:59]// 00000000E834: D3F30038 0CE2353E
	s_waitcnt vmcnt(16)                                        // 00000000E83C: BF8C4F70
	v_pk_mul_f32 v[28:29], v[124:125], v[28:29]                // 00000000E840: D3B1401C 1802397C
	v_pk_mul_f32 v[30:31], v[124:125], v[30:31]                // 00000000E848: D3B1401E 18023D7C
	v_mul_f32_dpp v28, v129, v28 row_newbcast:0 row_mask:0xf bank_mask:0xf// 00000000E850: 0A3838FA FF015081
	v_mul_f32_dpp v29, v129, v29 row_newbcast:1 row_mask:0xf bank_mask:0xf// 00000000E858: 0A3A3AFA FF015181
	v_mul_f32_dpp v30, v129, v30 row_newbcast:2 row_mask:0xf bank_mask:0xf// 00000000E860: 0A3C3CFA FF015281
	v_mul_f32_dpp v31, v129, v31 row_newbcast:3 row_mask:0xf bank_mask:0xf// 00000000E868: 0A3E3EFA FF015381
	v_pk_mul_f32 v[32:33], v[124:125], v[32:33]                // 00000000E870: D3B14020 1802417C
	v_pk_mul_f32 v[34:35], v[124:125], v[34:35]                // 00000000E878: D3B14022 1802457C
	v_mul_f32_dpp v32, v129, v32 row_newbcast:4 row_mask:0xf bank_mask:0xf// 00000000E880: 0A4040FA FF015481
	v_mul_f32_dpp v33, v129, v33 row_newbcast:5 row_mask:0xf bank_mask:0xf// 00000000E888: 0A4242FA FF015581
	v_mul_f32_dpp v34, v129, v34 row_newbcast:6 row_mask:0xf bank_mask:0xf// 00000000E890: 0A4444FA FF015681
	v_mul_f32_dpp v35, v129, v35 row_newbcast:7 row_mask:0xf bank_mask:0xf// 00000000E898: 0A4646FA FF015781
	v_pk_mul_f32 v[36:37], v[124:125], v[36:37]                // 00000000E8A0: D3B14024 1802497C
	v_pk_mul_f32 v[38:39], v[124:125], v[38:39]                // 00000000E8A8: D3B14026 18024D7C
	v_mul_f32_dpp v36, v129, v36 row_newbcast:8 row_mask:0xf bank_mask:0xf// 00000000E8B0: 0A4848FA FF015881
	v_mul_f32_dpp v37, v129, v37 row_newbcast:9 row_mask:0xf bank_mask:0xf// 00000000E8B8: 0A4A4AFA FF015981
	v_mul_f32_dpp v38, v129, v38 row_newbcast:10 row_mask:0xf bank_mask:0xf// 00000000E8C0: 0A4C4CFA FF015A81
	v_mul_f32_dpp v39, v129, v39 row_newbcast:11 row_mask:0xf bank_mask:0xf// 00000000E8C8: 0A4E4EFA FF015B81
	v_pk_mul_f32 v[40:41], v[124:125], v[40:41]                // 00000000E8D0: D3B14028 1802517C
	v_pk_mul_f32 v[42:43], v[124:125], v[42:43]                // 00000000E8D8: D3B1402A 1802557C
	v_mul_f32_dpp v40, v129, v40 row_newbcast:12 row_mask:0xf bank_mask:0xf// 00000000E8E0: 0A5050FA FF015C81
	v_mul_f32_dpp v41, v129, v41 row_newbcast:13 row_mask:0xf bank_mask:0xf// 00000000E8E8: 0A5252FA FF015D81
	v_mul_f32_dpp v42, v129, v42 row_newbcast:14 row_mask:0xf bank_mask:0xf// 00000000E8F0: 0A5454FA FF015E81
	v_mul_f32_dpp v43, v129, v43 row_newbcast:15 row_mask:0xf bank_mask:0xf// 00000000E8F8: 0A5656FA FF015F81
	v_pk_mul_f32 v[44:45], v[126:127], v[44:45]                // 00000000E900: D3B1402C 1802597E
	v_pk_mul_f32 v[46:47], v[126:127], v[46:47]                // 00000000E908: D3B1402E 18025D7E
	v_mul_f32_dpp v44, v129, v44 row_newbcast:0 row_mask:0xf bank_mask:0xf// 00000000E910: 0A5858FA FF015081
	v_mul_f32_dpp v45, v129, v45 row_newbcast:1 row_mask:0xf bank_mask:0xf// 00000000E918: 0A5A5AFA FF015181
	v_mul_f32_dpp v46, v129, v46 row_newbcast:2 row_mask:0xf bank_mask:0xf// 00000000E920: 0A5C5CFA FF015281
	v_mul_f32_dpp v47, v129, v47 row_newbcast:3 row_mask:0xf bank_mask:0xf// 00000000E928: 0A5E5EFA FF015381
	v_pk_mul_f32 v[48:49], v[126:127], v[48:49]                // 00000000E930: D3B14030 1802617E
	v_pk_mul_f32 v[50:51], v[126:127], v[50:51]                // 00000000E938: D3B14032 1802657E
	v_mul_f32_dpp v48, v129, v48 row_newbcast:4 row_mask:0xf bank_mask:0xf// 00000000E940: 0A6060FA FF015481
	v_mul_f32_dpp v49, v129, v49 row_newbcast:5 row_mask:0xf bank_mask:0xf// 00000000E948: 0A6262FA FF015581
	v_mul_f32_dpp v50, v129, v50 row_newbcast:6 row_mask:0xf bank_mask:0xf// 00000000E950: 0A6464FA FF015681
	v_mul_f32_dpp v51, v129, v51 row_newbcast:7 row_mask:0xf bank_mask:0xf// 00000000E958: 0A6666FA FF015781
	v_pk_mul_f32 v[52:53], v[126:127], v[52:53]                // 00000000E960: D3B14034 1802697E
	v_pk_mul_f32 v[54:55], v[126:127], v[54:55]                // 00000000E968: D3B14036 18026D7E
	v_mul_f32_dpp v52, v129, v52 row_newbcast:8 row_mask:0xf bank_mask:0xf// 00000000E970: 0A6868FA FF015881
	v_mul_f32_dpp v53, v129, v53 row_newbcast:9 row_mask:0xf bank_mask:0xf// 00000000E978: 0A6A6AFA FF015981
	v_mul_f32_dpp v54, v129, v54 row_newbcast:10 row_mask:0xf bank_mask:0xf// 00000000E980: 0A6C6CFA FF015A81
	v_mul_f32_dpp v55, v129, v55 row_newbcast:11 row_mask:0xf bank_mask:0xf// 00000000E988: 0A6E6EFA FF015B81
	v_pk_mul_f32 v[56:57], v[126:127], v[56:57]                // 00000000E990: D3B14038 1802717E
	v_pk_mul_f32 v[58:59], v[126:127], v[58:59]                // 00000000E998: D3B1403A 1802757E
	v_mul_f32_dpp v56, v129, v56 row_newbcast:12 row_mask:0xf bank_mask:0xf// 00000000E9A0: 0A7070FA FF015C81
	v_mul_f32_dpp v57, v129, v57 row_newbcast:13 row_mask:0xf bank_mask:0xf// 00000000E9A8: 0A7272FA FF015D81
	v_mul_f32_dpp v58, v129, v58 row_newbcast:14 row_mask:0xf bank_mask:0xf// 00000000E9B0: 0A7474FA FF015E81
	v_mul_f32_dpp v59, v129, v59 row_newbcast:15 row_mask:0xf bank_mask:0xf// 00000000E9B8: 0A7676FA FF015F81
	v_add_u32_e32 v186, s64, v196                              // 00000000E9C0: 69758840
	v_add_u32_e32 v187, 0, v186                                // 00000000E9C4: 69777480
	v_cmp_lt_u32_e64 s[98:99], v187, v194                      // 00000000E9C8: D0C90062 000385BB
	s_nop 0                                                    // 00000000E9D0: BF800000
	v_cndmask_b32_e64 v28, v197, v28, s[98:99]                 // 00000000E9D4: D100001C 018A39C5
	v_add_u32_e32 v187, 1, v186                                // 00000000E9DC: 69777481
	v_cmp_lt_u32_e64 s[98:99], v187, v194                      // 00000000E9E0: D0C90062 000385BB
	s_nop 0                                                    // 00000000E9E8: BF800000
	v_cndmask_b32_e64 v29, v197, v29, s[98:99]                 // 00000000E9EC: D100001D 018A3BC5
	v_add_u32_e32 v187, 2, v186                                // 00000000E9F4: 69777482
	v_cmp_lt_u32_e64 s[98:99], v187, v194                      // 00000000E9F8: D0C90062 000385BB
	s_nop 0                                                    // 00000000EA00: BF800000
	v_cndmask_b32_e64 v30, v197, v30, s[98:99]                 // 00000000EA04: D100001E 018A3DC5
	v_add_u32_e32 v187, 3, v186                                // 00000000EA0C: 69777483
	v_cmp_lt_u32_e64 s[98:99], v187, v194                      // 00000000EA10: D0C90062 000385BB
	s_nop 0                                                    // 00000000EA18: BF800000
	v_cndmask_b32_e64 v31, v197, v31, s[98:99]                 // 00000000EA1C: D100001F 018A3FC5
	v_add_u32_e32 v187, 64, v186                               // 00000000EA24: 697774C0
	v_cmp_lt_u32_e64 s[98:99], v187, v194                      // 00000000EA28: D0C90062 000385BB
	s_nop 0                                                    // 00000000EA30: BF800000
	v_cndmask_b32_e64 v32, v197, v32, s[98:99]                 // 00000000EA34: D1000020 018A41C5
	v_add_u32_e32 v187, 0x41, v186                             // 00000000EA3C: 697774FF 00000041
	v_cmp_lt_u32_e64 s[98:99], v187, v194                      // 00000000EA44: D0C90062 000385BB
	s_nop 0                                                    // 00000000EA4C: BF800000
	v_cndmask_b32_e64 v33, v197, v33, s[98:99]                 // 00000000EA50: D1000021 018A43C5
	v_add_u32_e32 v187, 0x42, v186                             // 00000000EA58: 697774FF 00000042
	v_cmp_lt_u32_e64 s[98:99], v187, v194                      // 00000000EA60: D0C90062 000385BB
	s_nop 0                                                    // 00000000EA68: BF800000
	v_cndmask_b32_e64 v34, v197, v34, s[98:99]                 // 00000000EA6C: D1000022 018A45C5
	v_add_u32_e32 v187, 0x43, v186                             // 00000000EA74: 697774FF 00000043
	v_cmp_lt_u32_e64 s[98:99], v187, v194                      // 00000000EA7C: D0C90062 000385BB
	s_nop 0                                                    // 00000000EA84: BF800000
	v_cndmask_b32_e64 v35, v197, v35, s[98:99]                 // 00000000EA88: D1000023 018A47C5
	v_add_u32_e32 v187, 0x80, v186                             // 00000000EA90: 697774FF 00000080
	v_cmp_lt_u32_e64 s[98:99], v187, v194                      // 00000000EA98: D0C90062 000385BB
	s_nop 0                                                    // 00000000EAA0: BF800000
	v_cndmask_b32_e64 v36, v197, v36, s[98:99]                 // 00000000EAA4: D1000024 018A49C5
	v_add_u32_e32 v187, 0x81, v186                             // 00000000EAAC: 697774FF 00000081
	v_cmp_lt_u32_e64 s[98:99], v187, v194                      // 00000000EAB4: D0C90062 000385BB
	s_nop 0                                                    // 00000000EABC: BF800000
	v_cndmask_b32_e64 v37, v197, v37, s[98:99]                 // 00000000EAC0: D1000025 018A4BC5
	v_add_u32_e32 v187, 0x82, v186                             // 00000000EAC8: 697774FF 00000082
	v_cmp_lt_u32_e64 s[98:99], v187, v194                      // 00000000EAD0: D0C90062 000385BB
	s_nop 0                                                    // 00000000EAD8: BF800000
	v_cndmask_b32_e64 v38, v197, v38, s[98:99]                 // 00000000EADC: D1000026 018A4DC5
	v_add_u32_e32 v187, 0x83, v186                             // 00000000EAE4: 697774FF 00000083
	v_cmp_lt_u32_e64 s[98:99], v187, v194                      // 00000000EAEC: D0C90062 000385BB
	s_nop 0                                                    // 00000000EAF4: BF800000
	v_cndmask_b32_e64 v39, v197, v39, s[98:99]                 // 00000000EAF8: D1000027 018A4FC5
	v_add_u32_e32 v187, 0xc0, v186                             // 00000000EB00: 697774FF 000000C0
	v_cmp_lt_u32_e64 s[98:99], v187, v194                      // 00000000EB08: D0C90062 000385BB
	s_nop 0                                                    // 00000000EB10: BF800000
	v_cndmask_b32_e64 v40, v197, v40, s[98:99]                 // 00000000EB14: D1000028 018A51C5
	v_add_u32_e32 v187, 0xc1, v186                             // 00000000EB1C: 697774FF 000000C1
	v_cmp_lt_u32_e64 s[98:99], v187, v194                      // 00000000EB24: D0C90062 000385BB
	s_nop 0                                                    // 00000000EB2C: BF800000
	v_cndmask_b32_e64 v41, v197, v41, s[98:99]                 // 00000000EB30: D1000029 018A53C5
	v_add_u32_e32 v187, 0xc2, v186                             // 00000000EB38: 697774FF 000000C2
	v_cmp_lt_u32_e64 s[98:99], v187, v194                      // 00000000EB40: D0C90062 000385BB
	s_nop 0                                                    // 00000000EB48: BF800000
	v_cndmask_b32_e64 v42, v197, v42, s[98:99]                 // 00000000EB4C: D100002A 018A55C5
	v_add_u32_e32 v187, 0xc3, v186                             // 00000000EB54: 697774FF 000000C3
	v_cmp_lt_u32_e64 s[98:99], v187, v194                      // 00000000EB5C: D0C90062 000385BB
	s_nop 0                                                    // 00000000EB64: BF800000
	v_cndmask_b32_e64 v43, v197, v43, s[98:99]                 // 00000000EB68: D100002B 018A57C5
	v_add_u32_e32 v187, 0, v186                                // 00000000EB70: 69777480
	v_cmp_lt_u32_e64 s[98:99], v187, v195                      // 00000000EB74: D0C90062 000387BB
	s_nop 0                                                    // 00000000EB7C: BF800000
	v_cndmask_b32_e64 v44, v197, v44, s[98:99]                 // 00000000EB80: D100002C 018A59C5
	v_add_u32_e32 v187, 1, v186                                // 00000000EB88: 69777481
	v_cmp_lt_u32_e64 s[98:99], v187, v195                      // 00000000EB8C: D0C90062 000387BB
	s_nop 0                                                    // 00000000EB94: BF800000
	v_cndmask_b32_e64 v45, v197, v45, s[98:99]                 // 00000000EB98: D100002D 018A5BC5
	v_add_u32_e32 v187, 2, v186                                // 00000000EBA0: 69777482
	v_cmp_lt_u32_e64 s[98:99], v187, v195                      // 00000000EBA4: D0C90062 000387BB
	s_nop 0                                                    // 00000000EBAC: BF800000
	v_cndmask_b32_e64 v46, v197, v46, s[98:99]                 // 00000000EBB0: D100002E 018A5DC5
	v_add_u32_e32 v187, 3, v186                                // 00000000EBB8: 69777483
	v_cmp_lt_u32_e64 s[98:99], v187, v195                      // 00000000EBBC: D0C90062 000387BB
	s_nop 0                                                    // 00000000EBC4: BF800000
	v_cndmask_b32_e64 v47, v197, v47, s[98:99]                 // 00000000EBC8: D100002F 018A5FC5
	v_add_u32_e32 v187, 64, v186                               // 00000000EBD0: 697774C0
	v_cmp_lt_u32_e64 s[98:99], v187, v195                      // 00000000EBD4: D0C90062 000387BB
	s_nop 0                                                    // 00000000EBDC: BF800000
	v_cndmask_b32_e64 v48, v197, v48, s[98:99]                 // 00000000EBE0: D1000030 018A61C5
	v_add_u32_e32 v187, 0x41, v186                             // 00000000EBE8: 697774FF 00000041
	v_cmp_lt_u32_e64 s[98:99], v187, v195                      // 00000000EBF0: D0C90062 000387BB
	s_nop 0                                                    // 00000000EBF8: BF800000
	v_cndmask_b32_e64 v49, v197, v49, s[98:99]                 // 00000000EBFC: D1000031 018A63C5
	v_add_u32_e32 v187, 0x42, v186                             // 00000000EC04: 697774FF 00000042
	v_cmp_lt_u32_e64 s[98:99], v187, v195                      // 00000000EC0C: D0C90062 000387BB
	s_nop 0                                                    // 00000000EC14: BF800000
	v_cndmask_b32_e64 v50, v197, v50, s[98:99]                 // 00000000EC18: D1000032 018A65C5
	v_add_u32_e32 v187, 0x43, v186                             // 00000000EC20: 697774FF 00000043
	v_cmp_lt_u32_e64 s[98:99], v187, v195                      // 00000000EC28: D0C90062 000387BB
	s_nop 0                                                    // 00000000EC30: BF800000
	v_cndmask_b32_e64 v51, v197, v51, s[98:99]                 // 00000000EC34: D1000033 018A67C5
	v_add_u32_e32 v187, 0x80, v186                             // 00000000EC3C: 697774FF 00000080
	v_cmp_lt_u32_e64 s[98:99], v187, v195                      // 00000000EC44: D0C90062 000387BB
	s_nop 0                                                    // 00000000EC4C: BF800000
	v_cndmask_b32_e64 v52, v197, v52, s[98:99]                 // 00000000EC50: D1000034 018A69C5
	v_add_u32_e32 v187, 0x81, v186                             // 00000000EC58: 697774FF 00000081
	v_cmp_lt_u32_e64 s[98:99], v187, v195                      // 00000000EC60: D0C90062 000387BB
	s_nop 0                                                    // 00000000EC68: BF800000
	v_cndmask_b32_e64 v53, v197, v53, s[98:99]                 // 00000000EC6C: D1000035 018A6BC5
	v_add_u32_e32 v187, 0x82, v186                             // 00000000EC74: 697774FF 00000082
	v_cmp_lt_u32_e64 s[98:99], v187, v195                      // 00000000EC7C: D0C90062 000387BB
	s_nop 0                                                    // 00000000EC84: BF800000
	v_cndmask_b32_e64 v54, v197, v54, s[98:99]                 // 00000000EC88: D1000036 018A6DC5
	v_add_u32_e32 v187, 0x83, v186                             // 00000000EC90: 697774FF 00000083
	v_cmp_lt_u32_e64 s[98:99], v187, v195                      // 00000000EC98: D0C90062 000387BB
	s_nop 0                                                    // 00000000ECA0: BF800000
	v_cndmask_b32_e64 v55, v197, v55, s[98:99]                 // 00000000ECA4: D1000037 018A6FC5
	v_add_u32_e32 v187, 0xc0, v186                             // 00000000ECAC: 697774FF 000000C0
	v_cmp_lt_u32_e64 s[98:99], v187, v195                      // 00000000ECB4: D0C90062 000387BB
	s_nop 0                                                    // 00000000ECBC: BF800000
	v_cndmask_b32_e64 v56, v197, v56, s[98:99]                 // 00000000ECC0: D1000038 018A71C5
	v_add_u32_e32 v187, 0xc1, v186                             // 00000000ECC8: 697774FF 000000C1
	v_cmp_lt_u32_e64 s[98:99], v187, v195                      // 00000000ECD0: D0C90062 000387BB
	s_nop 0                                                    // 00000000ECD8: BF800000
	v_cndmask_b32_e64 v57, v197, v57, s[98:99]                 // 00000000ECDC: D1000039 018A73C5
	v_add_u32_e32 v187, 0xc2, v186                             // 00000000ECE4: 697774FF 000000C2
	v_cmp_lt_u32_e64 s[98:99], v187, v195                      // 00000000ECEC: D0C90062 000387BB
	s_nop 0                                                    // 00000000ECF4: BF800000
	v_cndmask_b32_e64 v58, v197, v58, s[98:99]                 // 00000000ECF8: D100003A 018A75C5
	v_add_u32_e32 v187, 0xc3, v186                             // 00000000ED00: 697774FF 000000C3
	v_cmp_lt_u32_e64 s[98:99], v187, v195                      // 00000000ED08: D0C90062 000387BB
	s_nop 0                                                    // 00000000ED10: BF800000
	v_cndmask_b32_e64 v59, v197, v59, s[98:99]                 // 00000000ED14: D100003B 018A77C5
	v_mov_b32_e32 v150, v28                                    // 00000000ED1C: 7F2C031C
	v_max3_f32 v150, v28, v29, v150                            // 00000000ED20: D1D30096 065A3B1C
	v_max3_f32 v150, v30, v31, v150                            // 00000000ED28: D1D30096 065A3F1E
	v_max3_f32 v150, v32, v33, v150                            // 00000000ED30: D1D30096 065A4320
	v_max3_f32 v150, v34, v35, v150                            // 00000000ED38: D1D30096 065A4722
	v_max3_f32 v150, v36, v37, v150                            // 00000000ED40: D1D30096 065A4B24
	v_max3_f32 v150, v38, v39, v150                            // 00000000ED48: D1D30096 065A4F26
	v_max3_f32 v150, v40, v41, v150                            // 00000000ED50: D1D30096 065A5328
	v_max3_f32 v150, v42, v43, v150                            // 00000000ED58: D1D30096 065A572A
	v_mov_b32_e32 v151, v44                                    // 00000000ED60: 7F2E032C
	v_max3_f32 v151, v44, v45, v151                            // 00000000ED64: D1D30097 065E5B2C
	v_max3_f32 v151, v46, v47, v151                            // 00000000ED6C: D1D30097 065E5F2E
	v_max3_f32 v151, v48, v49, v151                            // 00000000ED74: D1D30097 065E6330
	v_max3_f32 v151, v50, v51, v151                            // 00000000ED7C: D1D30097 065E6732
	v_max3_f32 v151, v52, v53, v151                            // 00000000ED84: D1D30097 065E6B34
	v_max3_f32 v151, v54, v55, v151                            // 00000000ED8C: D1D30097 065E6F36
	v_max3_f32 v151, v56, v57, v151                            // 00000000ED94: D1D30097 065E7338
	v_max3_f32 v151, v58, v59, v151                            // 00000000ED9C: D1D30097 065E773A
	ds_write_b64 v220, v[150:151]                              // 00000000EDA4: D89A0000 000096DC
	v_pk_mul_f32 v[108:109], v[142:143], v[108:109]            // 00000000EDAC: D3B1406C 1802D98E
	v_pk_mul_f32 v[110:111], v[142:143], v[110:111]            // 00000000EDB4: D3B1406E 1802DD8E
	v_pk_mul_f32 v[112:113], v[142:143], v[112:113]            // 00000000EDBC: D3B14070 1802E18E
	v_pk_mul_f32 v[114:115], v[142:143], v[114:115]            // 00000000EDC4: D3B14072 1802E58E
	v_pk_mul_f32 v[116:117], v[144:145], v[116:117]            // 00000000EDCC: D3B14074 1802E990
	v_pk_mul_f32 v[118:119], v[144:145], v[118:119]            // 00000000EDD4: D3B14076 1802ED90
	v_pk_mul_f32 v[120:121], v[144:145], v[120:121]            // 00000000EDDC: D3B14078 1802F190
	v_pk_mul_f32 v[122:123], v[144:145], v[122:123]            // 00000000EDE4: D3B1407A 1802F590
	s_waitcnt lgkmcnt(0)                                       // 00000000EDEC: BF8CC07F
	s_barrier                                                  // 00000000EDF0: BF8A0000
	ds_read_b64 v[154:155], v221                               // 00000000EDF4: D8EC0000 9A0000DD
	ds_read_b64 v[156:157], v221 offset:128                    // 00000000EDFC: D8EC0080 9C0000DD
	ds_read_b64 v[158:159], v221 offset:256                    // 00000000EE04: D8EC0100 9E0000DD
	ds_read_b64 v[160:161], v221 offset:384                    // 00000000EE0C: D8EC0180 A00000DD
	ds_read_b64 v[162:163], v221 offset:512                    // 00000000EE14: D8EC0200 A20000DD
	ds_read_b64 v[164:165], v221 offset:640                    // 00000000EE1C: D8EC0280 A40000DD
	ds_read_b64 v[166:167], v221 offset:768                    // 00000000EE24: D8EC0300 A60000DD
	ds_read_b64 v[168:169], v221 offset:896                    // 00000000EE2C: D8EC0380 A80000DD
	ds_read_b64 v[170:171], v221 offset:1024                   // 00000000EE34: D8EC0400 AA0000DD
	ds_read_b64 v[172:173], v221 offset:1152                   // 00000000EE3C: D8EC0480 AC0000DD
	ds_read_b64 v[174:175], v221 offset:1280                   // 00000000EE44: D8EC0500 AE0000DD
	ds_read_b64 v[176:177], v221 offset:1408                   // 00000000EE4C: D8EC0580 B00000DD
	ds_read_b64 v[178:179], v221 offset:1536                   // 00000000EE54: D8EC0600 B20000DD
	ds_read_b64 v[180:181], v221 offset:1664                   // 00000000EE5C: D8EC0680 B40000DD
	ds_read_b64 v[182:183], v221 offset:1792                   // 00000000EE64: D8EC0700 B60000DD
	ds_read_b64 v[184:185], v221 offset:1920                   // 00000000EE6C: D8EC0780 B80000DD
	v_pk_mul_f32 v[92:93], v[132:133], v[92:93]                // 00000000EE74: D3B1405C 1802B984
	v_pk_mul_f32 v[94:95], v[132:133], v[94:95]                // 00000000EE7C: D3B1405E 1802BD84
	v_pk_mul_f32 v[96:97], v[132:133], v[96:97]                // 00000000EE84: D3B14060 1802C184
	v_pk_mul_f32 v[98:99], v[132:133], v[98:99]                // 00000000EE8C: D3B14062 1802C584
	v_pk_mul_f32 v[100:101], v[134:135], v[100:101]            // 00000000EE94: D3B14064 1802C986
	v_pk_mul_f32 v[102:103], v[134:135], v[102:103]            // 00000000EE9C: D3B14066 1802CD86
	v_pk_mul_f32 v[104:105], v[134:135], v[104:105]            // 00000000EEA4: D3B14068 1802D186
	v_pk_mul_f32 v[106:107], v[134:135], v[106:107]            // 00000000EEAC: D3B1406A 1802D586
	s_waitcnt lgkmcnt(0)                                       // 00000000EEB4: BF8CC07F
	v_max3_f32 v150, v154, v156, v150                          // 00000000EEB8: D1D30096 065B399A
	v_max3_f32 v151, v155, v157, v151                          // 00000000EEC0: D1D30097 065F3B9B
	v_max3_f32 v150, v158, v160, v150                          // 00000000EEC8: D1D30096 065B419E
	v_max3_f32 v151, v159, v161, v151                          // 00000000EED0: D1D30097 065F439F
	v_max3_f32 v150, v162, v164, v150                          // 00000000EED8: D1D30096 065B49A2
	v_max3_f32 v151, v163, v165, v151                          // 00000000EEE0: D1D30097 065F4BA3
	v_max3_f32 v150, v166, v168, v150                          // 00000000EEE8: D1D30096 065B51A6
	v_max3_f32 v151, v167, v169, v151                          // 00000000EEF0: D1D30097 065F53A7
	v_max3_f32 v150, v170, v172, v150                          // 00000000EEF8: D1D30096 065B59AA
	v_max3_f32 v151, v171, v173, v151                          // 00000000EF00: D1D30097 065F5BAB
	v_max3_f32 v150, v174, v176, v150                          // 00000000EF08: D1D30096 065B61AE
	v_max3_f32 v151, v175, v177, v151                          // 00000000EF10: D1D30097 065F63AF
	v_max3_f32 v150, v178, v180, v150                          // 00000000EF18: D1D30096 065B69B2
	v_max3_f32 v151, v179, v181, v151                          // 00000000EF20: D1D30097 065F6BB3
	v_max3_f32 v150, v182, v184, v150                          // 00000000EF28: D1D30096 065B71B6
	v_max3_f32 v151, v183, v185, v151                          // 00000000EF30: D1D30097 065F73B7
	v_max_f32_e32 v140, v150, v138                             // 00000000EF38: 17191596
	v_mul_f32_e64 v186, -s46, v140                             // 00000000EF3C: D10500BA 2003182E
	v_mov_b32_e32 v187, v186                                   // 00000000EF44: 7F7603BA
	v_pk_fma_f32 v[28:29], v[28:29], s[46:47], v[186:187]      // 00000000EF48: D3B0401C 1EE85D1C
	v_pk_fma_f32 v[30:31], v[30:31], s[46:47], v[186:187]      // 00000000EF50: D3B0401E 1EE85D1E
	v_exp_f32_e32 v28, v28                                     // 00000000EF58: 7E38411C
	v_exp_f32_e32 v29, v29                                     // 00000000EF5C: 7E3A411D
	v_exp_f32_e32 v30, v30                                     // 00000000EF60: 7E3C411E
	v_exp_f32_e32 v31, v31                                     // 00000000EF64: 7E3E411F
	v_pk_fma_f32 v[32:33], v[32:33], s[46:47], v[186:187]      // 00000000EF68: D3B04020 1EE85D20
	v_pk_fma_f32 v[34:35], v[34:35], s[46:47], v[186:187]      // 00000000EF70: D3B04022 1EE85D22
	v_exp_f32_e32 v32, v32                                     // 00000000EF78: 7E404120
	v_exp_f32_e32 v33, v33                                     // 00000000EF7C: 7E424121
	v_exp_f32_e32 v34, v34                                     // 00000000EF80: 7E444122
	v_exp_f32_e32 v35, v35                                     // 00000000EF84: 7E464123
	v_pk_fma_f32 v[36:37], v[36:37], s[46:47], v[186:187]      // 00000000EF88: D3B04024 1EE85D24
	v_pk_fma_f32 v[38:39], v[38:39], s[46:47], v[186:187]      // 00000000EF90: D3B04026 1EE85D26
	v_exp_f32_e32 v36, v36                                     // 00000000EF98: 7E484124
	v_exp_f32_e32 v37, v37                                     // 00000000EF9C: 7E4A4125
	v_exp_f32_e32 v38, v38                                     // 00000000EFA0: 7E4C4126
	v_exp_f32_e32 v39, v39                                     // 00000000EFA4: 7E4E4127
	v_pk_fma_f32 v[40:41], v[40:41], s[46:47], v[186:187]      // 00000000EFA8: D3B04028 1EE85D28
	v_pk_fma_f32 v[42:43], v[42:43], s[46:47], v[186:187]      // 00000000EFB0: D3B0402A 1EE85D2A
	v_exp_f32_e32 v40, v40                                     // 00000000EFB8: 7E504128
	v_exp_f32_e32 v41, v41                                     // 00000000EFBC: 7E524129
	v_exp_f32_e32 v42, v42                                     // 00000000EFC0: 7E54412A
	v_exp_f32_e32 v43, v43                                     // 00000000EFC4: 7E56412B
	v_max_f32_e32 v141, v151, v139                             // 00000000EFC8: 171B1797
	v_mul_f32_e64 v186, -s46, v141                             // 00000000EFCC: D10500BA 20031A2E
	v_mov_b32_e32 v187, v186                                   // 00000000EFD4: 7F7603BA
	v_pk_fma_f32 v[44:45], v[44:45], s[46:47], v[186:187]      // 00000000EFD8: D3B0402C 1EE85D2C
	v_pk_fma_f32 v[46:47], v[46:47], s[46:47], v[186:187]      // 00000000EFE0: D3B0402E 1EE85D2E
	v_exp_f32_e32 v44, v44                                     // 00000000EFE8: 7E58412C
	v_exp_f32_e32 v45, v45                                     // 00000000EFEC: 7E5A412D
	v_exp_f32_e32 v46, v46                                     // 00000000EFF0: 7E5C412E
	v_exp_f32_e32 v47, v47                                     // 00000000EFF4: 7E5E412F
	v_pk_fma_f32 v[48:49], v[48:49], s[46:47], v[186:187]      // 00000000EFF8: D3B04030 1EE85D30
	v_pk_fma_f32 v[50:51], v[50:51], s[46:47], v[186:187]      // 00000000F000: D3B04032 1EE85D32
	v_exp_f32_e32 v48, v48                                     // 00000000F008: 7E604130
	v_exp_f32_e32 v49, v49                                     // 00000000F00C: 7E624131
	v_exp_f32_e32 v50, v50                                     // 00000000F010: 7E644132
	v_exp_f32_e32 v51, v51                                     // 00000000F014: 7E664133
	v_pk_fma_f32 v[52:53], v[52:53], s[46:47], v[186:187]      // 00000000F018: D3B04034 1EE85D34
	v_pk_fma_f32 v[54:55], v[54:55], s[46:47], v[186:187]      // 00000000F020: D3B04036 1EE85D36
	v_exp_f32_e32 v52, v52                                     // 00000000F028: 7E684134
	v_exp_f32_e32 v53, v53                                     // 00000000F02C: 7E6A4135
	v_exp_f32_e32 v54, v54                                     // 00000000F030: 7E6C4136
	v_exp_f32_e32 v55, v55                                     // 00000000F034: 7E6E4137
	v_pk_fma_f32 v[56:57], v[56:57], s[46:47], v[186:187]      // 00000000F038: D3B04038 1EE85D38
	v_pk_fma_f32 v[58:59], v[58:59], s[46:47], v[186:187]      // 00000000F040: D3B0403A 1EE85D3A
	v_exp_f32_e32 v56, v56                                     // 00000000F048: 7E704138
	v_exp_f32_e32 v57, v57                                     // 00000000F04C: 7E724139
	v_exp_f32_e32 v58, v58                                     // 00000000F050: 7E74413A
	v_exp_f32_e32 v59, v59                                     // 00000000F054: 7E76413B
	v_mul_f32_dpp v60, v131, v28 row_newbcast:0 row_mask:0xf bank_mask:0xf// 00000000F058: 0A7838FA FF015083
	v_mul_f32_dpp v61, v131, v29 row_newbcast:1 row_mask:0xf bank_mask:0xf// 00000000F060: 0A7A3AFA FF015183
	v_mul_f32_dpp v62, v131, v30 row_newbcast:2 row_mask:0xf bank_mask:0xf// 00000000F068: 0A7C3CFA FF015283
	v_mul_f32_dpp v63, v131, v31 row_newbcast:3 row_mask:0xf bank_mask:0xf// 00000000F070: 0A7E3EFA FF015383
	v_mul_f32_dpp v64, v131, v32 row_newbcast:4 row_mask:0xf bank_mask:0xf// 00000000F078: 0A8040FA FF015483
	v_mul_f32_dpp v65, v131, v33 row_newbcast:5 row_mask:0xf bank_mask:0xf// 00000000F080: 0A8242FA FF015583
	v_mul_f32_dpp v66, v131, v34 row_newbcast:6 row_mask:0xf bank_mask:0xf// 00000000F088: 0A8444FA FF015683
	v_mul_f32_dpp v67, v131, v35 row_newbcast:7 row_mask:0xf bank_mask:0xf// 00000000F090: 0A8646FA FF015783
	v_mul_f32_dpp v68, v131, v36 row_newbcast:8 row_mask:0xf bank_mask:0xf// 00000000F098: 0A8848FA FF015883
	v_mul_f32_dpp v69, v131, v37 row_newbcast:9 row_mask:0xf bank_mask:0xf// 00000000F0A0: 0A8A4AFA FF015983
	v_mul_f32_dpp v70, v131, v38 row_newbcast:10 row_mask:0xf bank_mask:0xf// 00000000F0A8: 0A8C4CFA FF015A83
	v_mul_f32_dpp v71, v131, v39 row_newbcast:11 row_mask:0xf bank_mask:0xf// 00000000F0B0: 0A8E4EFA FF015B83
	v_mul_f32_dpp v72, v131, v40 row_newbcast:12 row_mask:0xf bank_mask:0xf// 00000000F0B8: 0A9050FA FF015C83
	v_mul_f32_dpp v73, v131, v41 row_newbcast:13 row_mask:0xf bank_mask:0xf// 00000000F0C0: 0A9252FA FF015D83
	v_mul_f32_dpp v74, v131, v42 row_newbcast:14 row_mask:0xf bank_mask:0xf// 00000000F0C8: 0A9454FA FF015E83
	v_mul_f32_dpp v75, v131, v43 row_newbcast:15 row_mask:0xf bank_mask:0xf// 00000000F0D0: 0A9656FA FF015F83
	v_mul_f32_dpp v76, v131, v44 row_newbcast:0 row_mask:0xf bank_mask:0xf// 00000000F0D8: 0A9858FA FF015083
	v_mul_f32_dpp v77, v131, v45 row_newbcast:1 row_mask:0xf bank_mask:0xf// 00000000F0E0: 0A9A5AFA FF015183
	v_mul_f32_dpp v78, v131, v46 row_newbcast:2 row_mask:0xf bank_mask:0xf// 00000000F0E8: 0A9C5CFA FF015283
	v_mul_f32_dpp v79, v131, v47 row_newbcast:3 row_mask:0xf bank_mask:0xf// 00000000F0F0: 0A9E5EFA FF015383
	v_mul_f32_dpp v80, v131, v48 row_newbcast:4 row_mask:0xf bank_mask:0xf// 00000000F0F8: 0AA060FA FF015483
	v_mul_f32_dpp v81, v131, v49 row_newbcast:5 row_mask:0xf bank_mask:0xf// 00000000F100: 0AA262FA FF015583
	v_mul_f32_dpp v82, v131, v50 row_newbcast:6 row_mask:0xf bank_mask:0xf// 00000000F108: 0AA464FA FF015683
	v_mul_f32_dpp v83, v131, v51 row_newbcast:7 row_mask:0xf bank_mask:0xf// 00000000F110: 0AA666FA FF015783
	v_mul_f32_dpp v84, v131, v52 row_newbcast:8 row_mask:0xf bank_mask:0xf// 00000000F118: 0AA868FA FF015883
	v_mul_f32_dpp v85, v131, v53 row_newbcast:9 row_mask:0xf bank_mask:0xf// 00000000F120: 0AAA6AFA FF015983
	v_mul_f32_dpp v86, v131, v54 row_newbcast:10 row_mask:0xf bank_mask:0xf// 00000000F128: 0AAC6CFA FF015A83
	v_mul_f32_dpp v87, v131, v55 row_newbcast:11 row_mask:0xf bank_mask:0xf// 00000000F130: 0AAE6EFA FF015B83
	v_mul_f32_dpp v88, v131, v56 row_newbcast:12 row_mask:0xf bank_mask:0xf// 00000000F138: 0AB070FA FF015C83
	v_mul_f32_dpp v89, v131, v57 row_newbcast:13 row_mask:0xf bank_mask:0xf// 00000000F140: 0AB272FA FF015D83
	v_mul_f32_dpp v90, v131, v58 row_newbcast:14 row_mask:0xf bank_mask:0xf// 00000000F148: 0AB474FA FF015E83
	v_mul_f32_dpp v91, v131, v59 row_newbcast:15 row_mask:0xf bank_mask:0xf// 00000000F150: 0AB676FA FF015F83
	v_add_u32_e32 v186, s64, v196                              // 00000000F158: 69758840
	v_add_u32_e32 v187, 0, v186                                // 00000000F15C: 69777480
	v_cmp_lt_u32_e32 vcc, v187, v194                           // 00000000F160: 7D9385BB
	v_cndmask_b32_e32 v60, 0, v60, vcc                         // 00000000F164: 00787880
	v_cmp_lt_u32_e32 vcc, v187, v195                           // 00000000F168: 7D9387BB
	v_cndmask_b32_e32 v76, 0, v76, vcc                         // 00000000F16C: 00989880
	v_add_u32_e32 v187, 1, v186                                // 00000000F170: 69777481
	v_cmp_lt_u32_e32 vcc, v187, v194                           // 00000000F174: 7D9385BB
	v_cndmask_b32_e32 v61, 0, v61, vcc                         // 00000000F178: 007A7A80
	v_cmp_lt_u32_e32 vcc, v187, v195                           // 00000000F17C: 7D9387BB
	v_cndmask_b32_e32 v77, 0, v77, vcc                         // 00000000F180: 009A9A80
	v_add_u32_e32 v187, 2, v186                                // 00000000F184: 69777482
	v_cmp_lt_u32_e32 vcc, v187, v194                           // 00000000F188: 7D9385BB
	v_cndmask_b32_e32 v62, 0, v62, vcc                         // 00000000F18C: 007C7C80
	v_cmp_lt_u32_e32 vcc, v187, v195                           // 00000000F190: 7D9387BB
	v_cndmask_b32_e32 v78, 0, v78, vcc                         // 00000000F194: 009C9C80
	v_add_u32_e32 v187, 3, v186                                // 00000000F198: 69777483
	v_cmp_lt_u32_e32 vcc, v187, v194                           // 00000000F19C: 7D9385BB
	v_cndmask_b32_e32 v63, 0, v63, vcc                         // 00000000F1A0: 007E7E80
	v_cmp_lt_u32_e32 vcc, v187, v195                           // 00000000F1A4: 7D9387BB
	v_cndmask_b32_e32 v79, 0, v79, vcc                         // 00000000F1A8: 009E9E80
	v_add_u32_e32 v187, 64, v186                               // 00000000F1AC: 697774C0
	v_cmp_lt_u32_e32 vcc, v187, v194                           // 00000000F1B0: 7D9385BB
	v_cndmask_b32_e32 v64, 0, v64, vcc                         // 00000000F1B4: 00808080
	v_cmp_lt_u32_e32 vcc, v187, v195                           // 00000000F1B8: 7D9387BB
	v_cndmask_b32_e32 v80, 0, v80, vcc                         // 00000000F1BC: 00A0A080
	v_add_u32_e32 v187, 0x41, v186                             // 00000000F1C0: 697774FF 00000041
	v_cmp_lt_u32_e32 vcc, v187, v194                           // 00000000F1C8: 7D9385BB
	v_cndmask_b32_e32 v65, 0, v65, vcc                         // 00000000F1CC: 00828280
	v_cmp_lt_u32_e32 vcc, v187, v195                           // 00000000F1D0: 7D9387BB
	v_cndmask_b32_e32 v81, 0, v81, vcc                         // 00000000F1D4: 00A2A280
	v_add_u32_e32 v187, 0x42, v186                             // 00000000F1D8: 697774FF 00000042
	v_cmp_lt_u32_e32 vcc, v187, v194                           // 00000000F1E0: 7D9385BB
	v_cndmask_b32_e32 v66, 0, v66, vcc                         // 00000000F1E4: 00848480
	v_cmp_lt_u32_e32 vcc, v187, v195                           // 00000000F1E8: 7D9387BB
	v_cndmask_b32_e32 v82, 0, v82, vcc                         // 00000000F1EC: 00A4A480
	v_add_u32_e32 v187, 0x43, v186                             // 00000000F1F0: 697774FF 00000043
	v_cmp_lt_u32_e32 vcc, v187, v194                           // 00000000F1F8: 7D9385BB
	v_cndmask_b32_e32 v67, 0, v67, vcc                         // 00000000F1FC: 00868680
	v_cmp_lt_u32_e32 vcc, v187, v195                           // 00000000F200: 7D9387BB
	v_cndmask_b32_e32 v83, 0, v83, vcc                         // 00000000F204: 00A6A680
	v_add_u32_e32 v187, 0x80, v186                             // 00000000F208: 697774FF 00000080
	v_cmp_lt_u32_e32 vcc, v187, v194                           // 00000000F210: 7D9385BB
	v_cndmask_b32_e32 v68, 0, v68, vcc                         // 00000000F214: 00888880
	v_cmp_lt_u32_e32 vcc, v187, v195                           // 00000000F218: 7D9387BB
	v_cndmask_b32_e32 v84, 0, v84, vcc                         // 00000000F21C: 00A8A880
	v_add_u32_e32 v187, 0x81, v186                             // 00000000F220: 697774FF 00000081
	v_cmp_lt_u32_e32 vcc, v187, v194                           // 00000000F228: 7D9385BB
	v_cndmask_b32_e32 v69, 0, v69, vcc                         // 00000000F22C: 008A8A80
	v_cmp_lt_u32_e32 vcc, v187, v195                           // 00000000F230: 7D9387BB
	v_cndmask_b32_e32 v85, 0, v85, vcc                         // 00000000F234: 00AAAA80
	v_add_u32_e32 v187, 0x82, v186                             // 00000000F238: 697774FF 00000082
	v_cmp_lt_u32_e32 vcc, v187, v194                           // 00000000F240: 7D9385BB
	v_cndmask_b32_e32 v70, 0, v70, vcc                         // 00000000F244: 008C8C80
	v_cmp_lt_u32_e32 vcc, v187, v195                           // 00000000F248: 7D9387BB
	v_cndmask_b32_e32 v86, 0, v86, vcc                         // 00000000F24C: 00ACAC80
	v_add_u32_e32 v187, 0x83, v186                             // 00000000F250: 697774FF 00000083
	v_cmp_lt_u32_e32 vcc, v187, v194                           // 00000000F258: 7D9385BB
	v_cndmask_b32_e32 v71, 0, v71, vcc                         // 00000000F25C: 008E8E80
	v_cmp_lt_u32_e32 vcc, v187, v195                           // 00000000F260: 7D9387BB
	v_cndmask_b32_e32 v87, 0, v87, vcc                         // 00000000F264: 00AEAE80
	v_add_u32_e32 v187, 0xc0, v186                             // 00000000F268: 697774FF 000000C0
	v_cmp_lt_u32_e32 vcc, v187, v194                           // 00000000F270: 7D9385BB
	v_cndmask_b32_e32 v72, 0, v72, vcc                         // 00000000F274: 00909080
	v_cmp_lt_u32_e32 vcc, v187, v195                           // 00000000F278: 7D9387BB
	v_cndmask_b32_e32 v88, 0, v88, vcc                         // 00000000F27C: 00B0B080
	v_add_u32_e32 v187, 0xc1, v186                             // 00000000F280: 697774FF 000000C1
	v_cmp_lt_u32_e32 vcc, v187, v194                           // 00000000F288: 7D9385BB
	v_cndmask_b32_e32 v73, 0, v73, vcc                         // 00000000F28C: 00929280
	v_cmp_lt_u32_e32 vcc, v187, v195                           // 00000000F290: 7D9387BB
	v_cndmask_b32_e32 v89, 0, v89, vcc                         // 00000000F294: 00B2B280
	v_add_u32_e32 v187, 0xc2, v186                             // 00000000F298: 697774FF 000000C2
	v_cmp_lt_u32_e32 vcc, v187, v194                           // 00000000F2A0: 7D9385BB
	v_cndmask_b32_e32 v74, 0, v74, vcc                         // 00000000F2A4: 00949480
	v_cmp_lt_u32_e32 vcc, v187, v195                           // 00000000F2A8: 7D9387BB
	v_cndmask_b32_e32 v90, 0, v90, vcc                         // 00000000F2AC: 00B4B480
	v_add_u32_e32 v187, 0xc3, v186                             // 00000000F2B0: 697774FF 000000C3
	v_cmp_lt_u32_e32 vcc, v187, v194                           // 00000000F2B8: 7D9385BB
	v_cndmask_b32_e32 v75, 0, v75, vcc                         // 00000000F2BC: 00969680
	v_cmp_lt_u32_e32 vcc, v187, v195                           // 00000000F2C0: 7D9387BB
	v_cndmask_b32_e32 v91, 0, v91, vcc                         // 00000000F2C4: 00B6B680
	v_mov_b32_e32 v150, 0x358637bd                             // 00000000F2C8: 7F2C02FF 358637BD
	v_max3_f32 v150, |v60|, |v61|, v150                        // 00000000F2D0: D1D30396 065A7B3C
	v_max3_f32 v150, |v62|, |v63|, v150                        // 00000000F2D8: D1D30396 065A7F3E
	v_max3_f32 v150, |v64|, |v65|, v150                        // 00000000F2E0: D1D30396 065A8340
	v_max3_f32 v150, |v66|, |v67|, v150                        // 00000000F2E8: D1D30396 065A8742
	v_max3_f32 v150, |v68|, |v69|, v150                        // 00000000F2F0: D1D30396 065A8B44
	v_max3_f32 v150, |v70|, |v71|, v150                        // 00000000F2F8: D1D30396 065A8F46
	v_max3_f32 v150, |v72|, |v73|, v150                        // 00000000F300: D1D30396 065A9348
	v_max3_f32 v150, |v74|, |v75|, v150                        // 00000000F308: D1D30396 065A974A
	v_mov_b32_e32 v151, 0x358637bd                             // 00000000F310: 7F2E02FF 358637BD
	v_max3_f32 v151, |v76|, |v77|, v151                        // 00000000F318: D1D30397 065E9B4C
	v_max3_f32 v151, |v78|, |v79|, v151                        // 00000000F320: D1D30397 065E9F4E
	v_max3_f32 v151, |v80|, |v81|, v151                        // 00000000F328: D1D30397 065EA350
	v_max3_f32 v151, |v82|, |v83|, v151                        // 00000000F330: D1D30397 065EA752
	v_max3_f32 v151, |v84|, |v85|, v151                        // 00000000F338: D1D30397 065EAB54
	v_max3_f32 v151, |v86|, |v87|, v151                        // 00000000F340: D1D30397 065EAF56
	v_max3_f32 v151, |v88|, |v89|, v151                        // 00000000F348: D1D30397 065EB358
	v_max3_f32 v151, |v90|, |v91|, v151                        // 00000000F350: D1D30397 065EB75A
	ds_write_b64 v220, v[150:151] offset:2304                  // 00000000F358: D89A0900 000096DC
	buffer_load_dword v128, v208, s[20:23], 0 offen            // 00000000F360: E0501000 800580D0
	v_sub_f32_e32 v142, v138, v140                             // 00000000F368: 051D198A
	v_cmp_eq_u32_e64 s[98:99], v197, v138                      // 00000000F36C: D0CA0062 000315C5
	v_cndmask_b32_e64 v142, v142, 0, s[98:99]                  // 00000000F374: D100008E 0189018E
	v_mov_b32_e32 v138, v140                                   // 00000000F37C: 7F14038C
	v_mul_f32_e32 v142, s46, v142                              // 00000000F380: 0B1D1C2E
	v_exp_f32_e32 v142, v142                                   // 00000000F384: 7F1C418E
	v_sub_f32_e32 v144, v139, v141                             // 00000000F388: 05211B8B
	v_cmp_eq_u32_e64 s[98:99], v197, v139                      // 00000000F38C: D0CA0062 000317C5
	v_cndmask_b32_e64 v144, v144, 0, s[98:99]                  // 00000000F394: D1000090 01890190
	v_mov_b32_e32 v139, v141                                   // 00000000F39C: 7F16038D
	v_mul_f32_e32 v144, s46, v144                              // 00000000F3A0: 0B21202E
	v_exp_f32_e32 v144, v144                                   // 00000000F3A4: 7F204190
	v_mov_b32_e32 v143, v142                                   // 00000000F3A8: 7F1E038E
	v_mov_b32_e32 v145, v144                                   // 00000000F3AC: 7F220390
	buffer_load_dword v130, v209, s[24:27], 0 offen            // 00000000F3B0: E0501000 800682D1
	s_waitcnt lgkmcnt(0)                                       // 00000000F3B8: BF8CC07F
	s_barrier                                                  // 00000000F3BC: BF8A0000
	ds_read_b64 v[154:155], v221 offset:2304                   // 00000000F3C0: D8EC0900 9A0000DD
	ds_read_b64 v[156:157], v221 offset:2432                   // 00000000F3C8: D8EC0980 9C0000DD
	ds_read_b64 v[158:159], v221 offset:2560                   // 00000000F3D0: D8EC0A00 9E0000DD
	ds_read_b64 v[160:161], v221 offset:2688                   // 00000000F3D8: D8EC0A80 A00000DD
	ds_read_b64 v[162:163], v221 offset:2816                   // 00000000F3E0: D8EC0B00 A20000DD
	ds_read_b64 v[164:165], v221 offset:2944                   // 00000000F3E8: D8EC0B80 A40000DD
	ds_read_b64 v[166:167], v221 offset:3072                   // 00000000F3F0: D8EC0C00 A60000DD
	ds_read_b64 v[168:169], v221 offset:3200                   // 00000000F3F8: D8EC0C80 A80000DD
	ds_read_b64 v[170:171], v221 offset:3328                   // 00000000F400: D8EC0D00 AA0000DD
	ds_read_b64 v[172:173], v221 offset:3456                   // 00000000F408: D8EC0D80 AC0000DD
	ds_read_b64 v[174:175], v221 offset:3584                   // 00000000F410: D8EC0E00 AE0000DD
	ds_read_b64 v[176:177], v221 offset:3712                   // 00000000F418: D8EC0E80 B00000DD
	ds_read_b64 v[178:179], v221 offset:3840                   // 00000000F420: D8EC0F00 B20000DD
	ds_read_b64 v[180:181], v221 offset:3968                   // 00000000F428: D8EC0F80 B40000DD
	ds_read_b64 v[182:183], v221 offset:4096                   // 00000000F430: D8EC1000 B60000DD
	ds_read_b64 v[184:185], v221 offset:4224                   // 00000000F438: D8EC1080 B80000DD
	v_mul_f32_e32 v146, v142, v146                             // 00000000F440: 0B25258E
	v_mov_b32_e32 v147, 0                                      // 00000000F444: 7F260280
	v_pk_add_f32 v[146:147], v[28:29], v[146:147]              // 00000000F448: D3B24092 1803251C
	v_pk_add_f32 v[146:147], v[30:31], v[146:147]              // 00000000F450: D3B24092 1803251E
	v_pk_add_f32 v[146:147], v[32:33], v[146:147]              // 00000000F458: D3B24092 18032520
	v_pk_add_f32 v[146:147], v[34:35], v[146:147]              // 00000000F460: D3B24092 18032522
	v_pk_add_f32 v[146:147], v[36:37], v[146:147]              // 00000000F468: D3B24092 18032524
	v_pk_add_f32 v[146:147], v[38:39], v[146:147]              // 00000000F470: D3B24092 18032526
	v_pk_add_f32 v[146:147], v[40:41], v[146:147]              // 00000000F478: D3B24092 18032528
	v_pk_add_f32 v[146:147], v[42:43], v[146:147]              // 00000000F480: D3B24092 1803252A
	v_add_f32_e32 v146, v147, v146                             // 00000000F488: 03252593
	v_mul_f32_e32 v148, v144, v148                             // 00000000F48C: 0B292990
	v_mov_b32_e32 v149, 0                                      // 00000000F490: 7F2A0280
	v_pk_add_f32 v[148:149], v[44:45], v[148:149]              // 00000000F494: D3B24094 1803292C
	v_pk_add_f32 v[148:149], v[46:47], v[148:149]              // 00000000F49C: D3B24094 1803292E
	v_pk_add_f32 v[148:149], v[48:49], v[148:149]              // 00000000F4A4: D3B24094 18032930
	v_pk_add_f32 v[148:149], v[50:51], v[148:149]              // 00000000F4AC: D3B24094 18032932
	v_pk_add_f32 v[148:149], v[52:53], v[148:149]              // 00000000F4B4: D3B24094 18032934
	v_pk_add_f32 v[148:149], v[54:55], v[148:149]              // 00000000F4BC: D3B24094 18032936
	v_pk_add_f32 v[148:149], v[56:57], v[148:149]              // 00000000F4C4: D3B24094 18032938
	v_pk_add_f32 v[148:149], v[58:59], v[148:149]              // 00000000F4CC: D3B24094 1803293A
	v_add_f32_e32 v148, v149, v148                             // 00000000F4D4: 03292995
	s_waitcnt lgkmcnt(0)                                       // 00000000F4D8: BF8CC07F
	v_max3_f32 v150, v154, v156, v150                          // 00000000F4DC: D1D30096 065B399A
	v_max3_f32 v151, v155, v157, v151                          // 00000000F4E4: D1D30097 065F3B9B
	v_max3_f32 v150, v158, v160, v150                          // 00000000F4EC: D1D30096 065B419E
	v_max3_f32 v151, v159, v161, v151                          // 00000000F4F4: D1D30097 065F439F
	v_max3_f32 v150, v162, v164, v150                          // 00000000F4FC: D1D30096 065B49A2
	v_max3_f32 v151, v163, v165, v151                          // 00000000F504: D1D30097 065F4BA3
	v_max3_f32 v150, v166, v168, v150                          // 00000000F50C: D1D30096 065B51A6
	v_max3_f32 v151, v167, v169, v151                          // 00000000F514: D1D30097 065F53A7
	v_max3_f32 v150, v170, v172, v150                          // 00000000F51C: D1D30096 065B59AA
	v_max3_f32 v151, v171, v173, v151                          // 00000000F524: D1D30097 065F5BAB
	v_max3_f32 v150, v174, v176, v150                          // 00000000F52C: D1D30096 065B61AE
	v_max3_f32 v151, v175, v177, v151                          // 00000000F534: D1D30097 065F63AF
	v_max3_f32 v150, v178, v180, v150                          // 00000000F53C: D1D30096 065B69B2
	v_max3_f32 v151, v179, v181, v151                          // 00000000F544: D1D30097 065F6BB3
	v_max3_f32 v150, v182, v184, v150                          // 00000000F54C: D1D30096 065B71B6
	v_max3_f32 v151, v183, v185, v151                          // 00000000F554: D1D30097 065F73B7
	v_rcp_f32_e32 v150, v150                                   // 00000000F55C: 7F2C4596
	v_rcp_f32_e32 v151, v151                                   // 00000000F560: 7F2E4597
	v_mul_f32_e32 v150, 0x43700000, v150                       // 00000000F564: 0B2D2CFF 43700000
	v_mul_f32_e32 v151, 0x43700000, v151                       // 00000000F56C: 0B2F2EFF 43700000
	v_mov_b32_e32 v152, v151                                   // 00000000F574: 7F300397
	v_mov_b32_e32 v153, v151                                   // 00000000F578: 7F320397
	v_mov_b32_e32 v151, v150                                   // 00000000F57C: 7F2E0396
	v_pk_mul_f32 v[28:29], v[150:151], v[60:61]                // 00000000F580: D3B1401C 18027996
	v_pk_mul_f32 v[30:31], v[150:151], v[62:63]                // 00000000F588: D3B1401E 18027D96
	v_pk_mul_f32 v[32:33], v[150:151], v[64:65]                // 00000000F590: D3B14020 18028196
	v_pk_mul_f32 v[34:35], v[150:151], v[66:67]                // 00000000F598: D3B14022 18028596
	v_pk_mul_f32 v[36:37], v[150:151], v[68:69]                // 00000000F5A0: D3B14024 18028996
	v_pk_mul_f32 v[38:39], v[150:151], v[70:71]                // 00000000F5A8: D3B14026 18028D96
	v_pk_mul_f32 v[40:41], v[150:151], v[72:73]                // 00000000F5B0: D3B14028 18029196
	v_pk_mul_f32 v[42:43], v[150:151], v[74:75]                // 00000000F5B8: D3B1402A 18029596
	v_pk_mul_f32 v[44:45], v[152:153], v[76:77]                // 00000000F5C0: D3B1402C 18029998
	v_pk_mul_f32 v[46:47], v[152:153], v[78:79]                // 00000000F5C8: D3B1402E 18029D98
	v_pk_mul_f32 v[48:49], v[152:153], v[80:81]                // 00000000F5D0: D3B14030 1802A198
	v_pk_mul_f32 v[50:51], v[152:153], v[82:83]                // 00000000F5D8: D3B14032 1802A598
	v_pk_mul_f32 v[52:53], v[152:153], v[84:85]                // 00000000F5E0: D3B14034 1802A998
	v_pk_mul_f32 v[54:55], v[152:153], v[86:87]                // 00000000F5E8: D3B14036 1802AD98
	v_pk_mul_f32 v[56:57], v[152:153], v[88:89]                // 00000000F5F0: D3B14038 1802B198
	v_pk_mul_f32 v[58:59], v[152:153], v[90:91]                // 00000000F5F8: D3B1403A 1802B598
	v_cvt_pk_fp8_f32 v28, v28, v29                             // 00000000F600: D2A2001C 00023B1C
	v_cvt_pk_fp8_f32 v28, v30, v31 op_sel:[0,0,1]              // 00000000F608: D2A2401C 00023F1E
	v_cvt_pk_fp8_f32 v29, v32, v33                             // 00000000F610: D2A2001D 00024320
	v_cvt_pk_fp8_f32 v29, v34, v35 op_sel:[0,0,1]              // 00000000F618: D2A2401D 00024722
	v_cvt_pk_fp8_f32 v30, v36, v37                             // 00000000F620: D2A2001E 00024B24
	v_cvt_pk_fp8_f32 v30, v38, v39 op_sel:[0,0,1]              // 00000000F628: D2A2401E 00024F26
	v_cvt_pk_fp8_f32 v31, v40, v41                             // 00000000F630: D2A2001F 00025328
	v_cvt_pk_fp8_f32 v31, v42, v43 op_sel:[0,0,1]              // 00000000F638: D2A2401F 0002572A
	v_cvt_pk_fp8_f32 v32, v44, v45                             // 00000000F640: D2A20020 00025B2C
	v_cvt_pk_fp8_f32 v32, v46, v47 op_sel:[0,0,1]              // 00000000F648: D2A24020 00025F2E
	v_cvt_pk_fp8_f32 v33, v48, v49                             // 00000000F650: D2A20021 00026330
	v_cvt_pk_fp8_f32 v33, v50, v51 op_sel:[0,0,1]              // 00000000F658: D2A24021 00026732
	v_cvt_pk_fp8_f32 v34, v52, v53                             // 00000000F660: D2A20022 00026B34
	v_cvt_pk_fp8_f32 v34, v54, v55 op_sel:[0,0,1]              // 00000000F668: D2A24022 00026F36
	v_cvt_pk_fp8_f32 v35, v56, v57                             // 00000000F670: D2A20023 00027338
	v_cvt_pk_fp8_f32 v35, v58, v59 op_sel:[0,0,1]              // 00000000F678: D2A24023 0002773A
	ds_write_b32 v222, v28 offset:4608                         // 00000000F680: D81A1200 00001CDE
	ds_write_b32 v222, v29 offset:5632                         // 00000000F688: D81A1600 00001DDE
	ds_write_b32 v222, v30 offset:6656                         // 00000000F690: D81A1A00 00001EDE
	ds_write_b32 v222, v31 offset:7680                         // 00000000F698: D81A1E00 00001FDE
	ds_write_b32 v222, v32 offset:8704                         // 00000000F6A0: D81A2200 000020DE
	ds_write_b32 v222, v33 offset:9728                         // 00000000F6A8: D81A2600 000021DE
	ds_write_b32 v222, v34 offset:10752                        // 00000000F6B0: D81A2A00 000022DE
	ds_write_b32 v222, v35 offset:11776                        // 00000000F6B8: D81A2E00 000023DE
	v_rcp_f32_e32 v132, v150                                   // 00000000F6C0: 7F084596
	v_rcp_f32_e32 v134, v152                                   // 00000000F6C4: 7F0C4598
	v_mov_b32_e32 v133, v132                                   // 00000000F6C8: 7F0A0384
	v_mov_b32_e32 v135, v134                                   // 00000000F6CC: 7F0E0386
	v_pk_add_f32 v[108:109], v[108:109], v[92:93]              // 00000000F6D0: D3B2406C 1802B96C
	v_pk_add_f32 v[110:111], v[110:111], v[94:95]              // 00000000F6D8: D3B2406E 1802BD6E
	v_pk_add_f32 v[112:113], v[112:113], v[96:97]              // 00000000F6E0: D3B24070 1802C170
	v_pk_add_f32 v[114:115], v[114:115], v[98:99]              // 00000000F6E8: D3B24072 1802C572
	v_pk_add_f32 v[116:117], v[116:117], v[100:101]            // 00000000F6F0: D3B24074 1802C974
	v_pk_add_f32 v[118:119], v[118:119], v[102:103]            // 00000000F6F8: D3B24076 1802CD76
	v_pk_add_f32 v[120:121], v[120:121], v[104:105]            // 00000000F700: D3B24078 1802D178
	v_pk_add_f32 v[122:123], v[122:123], v[106:107]            // 00000000F708: D3B2407A 1802D57A
	s_waitcnt lgkmcnt(0)                                       // 00000000F710: BF8CC07F
	s_barrier                                                  // 00000000F714: BF8A0000
	ds_read_b128 v[28:31], v223 offset:4608                    // 00000000F718: D9FE1200 1C0000DF
	ds_read_b128 v[32:35], v223 offset:5632                    // 00000000F720: D9FE1600 200000DF
	ds_read_b128 v[36:39], v223 offset:6656                    // 00000000F728: D9FE1A00 240000DF
	ds_read_b128 v[40:43], v223 offset:7680                    // 00000000F730: D9FE1E00 280000DF
	ds_read_b128 v[44:47], v223 offset:8704                    // 00000000F738: D9FE2200 2C0000DF
	ds_read_b128 v[48:51], v223 offset:9728                    // 00000000F740: D9FE2600 300000DF
	ds_read_b128 v[52:55], v223 offset:10752                   // 00000000F748: D9FE2A00 340000DF
	ds_read_b128 v[56:59], v223 offset:11776                   // 00000000F750: D9FE2E00 380000DF
	s_waitcnt vmcnt(10)                                        // 00000000F758: BF8C0F7A
	v_lshrrev_b32_e32 v136, 4, v0                              // 00000000F75C: 21100084
	v_lshlrev_b32_e32 v136, 4, v136                            // 00000000F760: 25111084
	v_add_u32_e32 v186, s64, v136                              // 00000000F764: 69751040
	v_add_u32_e32 v186, 4, v186                                // 00000000F768: 69757484
	v_sub_i32 v186, v186, s62                                  // 00000000F76C: D29D00BA 00007DBA
	s_mov_b32 s54, 0                                           // 00000000F774: BEB60080
	v_add_i32 v187, s54, v186                                  // 00000000F778: D29C00BB 00037436
	v_cmp_lt_i32_e64 vcc, v187, 4                              // 00000000F780: D0C1006A 000109BB
	v_min_u32_e32 v187, 4, v187                                // 00000000F788: 1D777684
	v_lshlrev_b32_e32 v187, 3, v187                            // 00000000F78C: 25777683
	v_lshrrev_b32_e64 v188, v187, -1                           // 00000000F790: D11000BC 000183BB
	v_accvgpr_read_b32 v189, a96                               // 00000000F798: D3D840BD 18000160
	v_cndmask_b32_e32 v189, 0, v189, vcc                       // 00000000F7A0: 017B7A80
	v_and_b32_e32 v189, v189, v188                             // 00000000F7A4: 277B79BD
	v_accvgpr_write_b32 a96, v189                              // 00000000F7A8: D3D94060 180001BD
	v_accvgpr_read_b32 v189, a112                              // 00000000F7B0: D3D840BD 18000170
	v_cndmask_b32_e32 v189, 0, v189, vcc                       // 00000000F7B8: 017B7A80
	v_and_b32_e32 v189, v189, v188                             // 00000000F7BC: 277B79BD
	v_accvgpr_write_b32 a112, v189                             // 00000000F7C0: D3D94070 180001BD
	s_mov_b32 s54, 4                                           // 00000000F7C8: BEB60084
	v_add_i32 v187, s54, v186                                  // 00000000F7CC: D29C00BB 00037436
	v_cmp_lt_i32_e64 vcc, v187, 4                              // 00000000F7D4: D0C1006A 000109BB
	v_min_u32_e32 v187, 4, v187                                // 00000000F7DC: 1D777684
	v_lshlrev_b32_e32 v187, 3, v187                            // 00000000F7E0: 25777683
	v_lshrrev_b32_e64 v188, v187, -1                           // 00000000F7E4: D11000BC 000183BB
	v_accvgpr_read_b32 v189, a97                               // 00000000F7EC: D3D840BD 18000161
	v_cndmask_b32_e32 v189, 0, v189, vcc                       // 00000000F7F4: 017B7A80
	v_and_b32_e32 v189, v189, v188                             // 00000000F7F8: 277B79BD
	v_accvgpr_write_b32 a97, v189                              // 00000000F7FC: D3D94061 180001BD
	v_accvgpr_read_b32 v189, a113                              // 00000000F804: D3D840BD 18000171
	v_cndmask_b32_e32 v189, 0, v189, vcc                       // 00000000F80C: 017B7A80
	v_and_b32_e32 v189, v189, v188                             // 00000000F810: 277B79BD
	v_accvgpr_write_b32 a113, v189                             // 00000000F814: D3D94071 180001BD
	s_mov_b32 s54, 8                                           // 00000000F81C: BEB60088
	v_add_i32 v187, s54, v186                                  // 00000000F820: D29C00BB 00037436
	v_cmp_lt_i32_e64 vcc, v187, 4                              // 00000000F828: D0C1006A 000109BB
	v_min_u32_e32 v187, 4, v187                                // 00000000F830: 1D777684
	v_lshlrev_b32_e32 v187, 3, v187                            // 00000000F834: 25777683
	v_lshrrev_b32_e64 v188, v187, -1                           // 00000000F838: D11000BC 000183BB
	v_accvgpr_read_b32 v189, a98                               // 00000000F840: D3D840BD 18000162
	v_cndmask_b32_e32 v189, 0, v189, vcc                       // 00000000F848: 017B7A80
	v_and_b32_e32 v189, v189, v188                             // 00000000F84C: 277B79BD
	v_accvgpr_write_b32 a98, v189                              // 00000000F850: D3D94062 180001BD
	v_accvgpr_read_b32 v189, a114                              // 00000000F858: D3D840BD 18000172
	v_cndmask_b32_e32 v189, 0, v189, vcc                       // 00000000F860: 017B7A80
	v_and_b32_e32 v189, v189, v188                             // 00000000F864: 277B79BD
	v_accvgpr_write_b32 a114, v189                             // 00000000F868: D3D94072 180001BD
	s_mov_b32 s54, 12                                          // 00000000F870: BEB6008C
	v_add_i32 v187, s54, v186                                  // 00000000F874: D29C00BB 00037436
	v_cmp_lt_i32_e64 vcc, v187, 4                              // 00000000F87C: D0C1006A 000109BB
	v_min_u32_e32 v187, 4, v187                                // 00000000F884: 1D777684
	v_lshlrev_b32_e32 v187, 3, v187                            // 00000000F888: 25777683
	v_lshrrev_b32_e64 v188, v187, -1                           // 00000000F88C: D11000BC 000183BB
	v_accvgpr_read_b32 v189, a99                               // 00000000F894: D3D840BD 18000163
	v_cndmask_b32_e32 v189, 0, v189, vcc                       // 00000000F89C: 017B7A80
	v_and_b32_e32 v189, v189, v188                             // 00000000F8A0: 277B79BD
	v_accvgpr_write_b32 a99, v189                              // 00000000F8A4: D3D94063 180001BD
	v_accvgpr_read_b32 v189, a115                              // 00000000F8AC: D3D840BD 18000173
	v_cndmask_b32_e32 v189, 0, v189, vcc                       // 00000000F8B4: 017B7A80
	v_and_b32_e32 v189, v189, v188                             // 00000000F8B8: 277B79BD
	v_accvgpr_write_b32 a115, v189                             // 00000000F8BC: D3D94073 180001BD
	s_mov_b32 s54, 64                                          // 00000000F8C4: BEB600C0
	v_add_i32 v187, s54, v186                                  // 00000000F8C8: D29C00BB 00037436
	v_cmp_lt_i32_e64 vcc, v187, 4                              // 00000000F8D0: D0C1006A 000109BB
	v_min_u32_e32 v187, 4, v187                                // 00000000F8D8: 1D777684
	v_lshlrev_b32_e32 v187, 3, v187                            // 00000000F8DC: 25777683
	v_lshrrev_b32_e64 v188, v187, -1                           // 00000000F8E0: D11000BC 000183BB
	v_accvgpr_read_b32 v189, a100                              // 00000000F8E8: D3D840BD 18000164
	v_cndmask_b32_e32 v189, 0, v189, vcc                       // 00000000F8F0: 017B7A80
	v_and_b32_e32 v189, v189, v188                             // 00000000F8F4: 277B79BD
	v_accvgpr_write_b32 a100, v189                             // 00000000F8F8: D3D94064 180001BD
	v_accvgpr_read_b32 v189, a116                              // 00000000F900: D3D840BD 18000174
	v_cndmask_b32_e32 v189, 0, v189, vcc                       // 00000000F908: 017B7A80
	v_and_b32_e32 v189, v189, v188                             // 00000000F90C: 277B79BD
	v_accvgpr_write_b32 a116, v189                             // 00000000F910: D3D94074 180001BD
	s_mov_b32 s54, 0x44                                        // 00000000F918: BEB600FF 00000044
	v_add_i32 v187, s54, v186                                  // 00000000F920: D29C00BB 00037436
	v_cmp_lt_i32_e64 vcc, v187, 4                              // 00000000F928: D0C1006A 000109BB
	v_min_u32_e32 v187, 4, v187                                // 00000000F930: 1D777684
	v_lshlrev_b32_e32 v187, 3, v187                            // 00000000F934: 25777683
	v_lshrrev_b32_e64 v188, v187, -1                           // 00000000F938: D11000BC 000183BB
	v_accvgpr_read_b32 v189, a101                              // 00000000F940: D3D840BD 18000165
	v_cndmask_b32_e32 v189, 0, v189, vcc                       // 00000000F948: 017B7A80
	v_and_b32_e32 v189, v189, v188                             // 00000000F94C: 277B79BD
	v_accvgpr_write_b32 a101, v189                             // 00000000F950: D3D94065 180001BD
	v_accvgpr_read_b32 v189, a117                              // 00000000F958: D3D840BD 18000175
	v_cndmask_b32_e32 v189, 0, v189, vcc                       // 00000000F960: 017B7A80
	v_and_b32_e32 v189, v189, v188                             // 00000000F964: 277B79BD
	v_accvgpr_write_b32 a117, v189                             // 00000000F968: D3D94075 180001BD
	s_mov_b32 s54, 0x48                                        // 00000000F970: BEB600FF 00000048
	v_add_i32 v187, s54, v186                                  // 00000000F978: D29C00BB 00037436
	v_cmp_lt_i32_e64 vcc, v187, 4                              // 00000000F980: D0C1006A 000109BB
	v_min_u32_e32 v187, 4, v187                                // 00000000F988: 1D777684
	v_lshlrev_b32_e32 v187, 3, v187                            // 00000000F98C: 25777683
	v_lshrrev_b32_e64 v188, v187, -1                           // 00000000F990: D11000BC 000183BB
	v_accvgpr_read_b32 v189, a102                              // 00000000F998: D3D840BD 18000166
	v_cndmask_b32_e32 v189, 0, v189, vcc                       // 00000000F9A0: 017B7A80
	v_and_b32_e32 v189, v189, v188                             // 00000000F9A4: 277B79BD
	v_accvgpr_write_b32 a102, v189                             // 00000000F9A8: D3D94066 180001BD
	v_accvgpr_read_b32 v189, a118                              // 00000000F9B0: D3D840BD 18000176
	v_cndmask_b32_e32 v189, 0, v189, vcc                       // 00000000F9B8: 017B7A80
	v_and_b32_e32 v189, v189, v188                             // 00000000F9BC: 277B79BD
	v_accvgpr_write_b32 a118, v189                             // 00000000F9C0: D3D94076 180001BD
	s_mov_b32 s54, 0x4c                                        // 00000000F9C8: BEB600FF 0000004C
	v_add_i32 v187, s54, v186                                  // 00000000F9D0: D29C00BB 00037436
	v_cmp_lt_i32_e64 vcc, v187, 4                              // 00000000F9D8: D0C1006A 000109BB
	v_min_u32_e32 v187, 4, v187                                // 00000000F9E0: 1D777684
	v_lshlrev_b32_e32 v187, 3, v187                            // 00000000F9E4: 25777683
	v_lshrrev_b32_e64 v188, v187, -1                           // 00000000F9E8: D11000BC 000183BB
	v_accvgpr_read_b32 v189, a103                              // 00000000F9F0: D3D840BD 18000167
	v_cndmask_b32_e32 v189, 0, v189, vcc                       // 00000000F9F8: 017B7A80
	v_and_b32_e32 v189, v189, v188                             // 00000000F9FC: 277B79BD
	v_accvgpr_write_b32 a103, v189                             // 00000000FA00: D3D94067 180001BD
	v_accvgpr_read_b32 v189, a119                              // 00000000FA08: D3D840BD 18000177
	v_cndmask_b32_e32 v189, 0, v189, vcc                       // 00000000FA10: 017B7A80
	v_and_b32_e32 v189, v189, v188                             // 00000000FA14: 277B79BD
	v_accvgpr_write_b32 a119, v189                             // 00000000FA18: D3D94077 180001BD
	s_mov_b32 s54, 0x80                                        // 00000000FA20: BEB600FF 00000080
	v_add_i32 v187, s54, v186                                  // 00000000FA28: D29C00BB 00037436
	v_cmp_lt_i32_e64 vcc, v187, 4                              // 00000000FA30: D0C1006A 000109BB
	v_min_u32_e32 v187, 4, v187                                // 00000000FA38: 1D777684
	v_lshlrev_b32_e32 v187, 3, v187                            // 00000000FA3C: 25777683
	v_lshrrev_b32_e64 v188, v187, -1                           // 00000000FA40: D11000BC 000183BB
	v_accvgpr_read_b32 v189, a104                              // 00000000FA48: D3D840BD 18000168
	v_cndmask_b32_e32 v189, 0, v189, vcc                       // 00000000FA50: 017B7A80
	v_and_b32_e32 v189, v189, v188                             // 00000000FA54: 277B79BD
	v_accvgpr_write_b32 a104, v189                             // 00000000FA58: D3D94068 180001BD
	v_accvgpr_read_b32 v189, a120                              // 00000000FA60: D3D840BD 18000178
	v_cndmask_b32_e32 v189, 0, v189, vcc                       // 00000000FA68: 017B7A80
	v_and_b32_e32 v189, v189, v188                             // 00000000FA6C: 277B79BD
	v_accvgpr_write_b32 a120, v189                             // 00000000FA70: D3D94078 180001BD
	s_mov_b32 s54, 0x84                                        // 00000000FA78: BEB600FF 00000084
	v_add_i32 v187, s54, v186                                  // 00000000FA80: D29C00BB 00037436
	v_cmp_lt_i32_e64 vcc, v187, 4                              // 00000000FA88: D0C1006A 000109BB
	v_min_u32_e32 v187, 4, v187                                // 00000000FA90: 1D777684
	v_lshlrev_b32_e32 v187, 3, v187                            // 00000000FA94: 25777683
	v_lshrrev_b32_e64 v188, v187, -1                           // 00000000FA98: D11000BC 000183BB
	v_accvgpr_read_b32 v189, a105                              // 00000000FAA0: D3D840BD 18000169
	v_cndmask_b32_e32 v189, 0, v189, vcc                       // 00000000FAA8: 017B7A80
	v_and_b32_e32 v189, v189, v188                             // 00000000FAAC: 277B79BD
	v_accvgpr_write_b32 a105, v189                             // 00000000FAB0: D3D94069 180001BD
	v_accvgpr_read_b32 v189, a121                              // 00000000FAB8: D3D840BD 18000179
	v_cndmask_b32_e32 v189, 0, v189, vcc                       // 00000000FAC0: 017B7A80
	v_and_b32_e32 v189, v189, v188                             // 00000000FAC4: 277B79BD
	v_accvgpr_write_b32 a121, v189                             // 00000000FAC8: D3D94079 180001BD
	s_mov_b32 s54, 0x88                                        // 00000000FAD0: BEB600FF 00000088
	v_add_i32 v187, s54, v186                                  // 00000000FAD8: D29C00BB 00037436
	v_cmp_lt_i32_e64 vcc, v187, 4                              // 00000000FAE0: D0C1006A 000109BB
	v_min_u32_e32 v187, 4, v187                                // 00000000FAE8: 1D777684
	v_lshlrev_b32_e32 v187, 3, v187                            // 00000000FAEC: 25777683
	v_lshrrev_b32_e64 v188, v187, -1                           // 00000000FAF0: D11000BC 000183BB
	v_accvgpr_read_b32 v189, a106                              // 00000000FAF8: D3D840BD 1800016A
	v_cndmask_b32_e32 v189, 0, v189, vcc                       // 00000000FB00: 017B7A80
	v_and_b32_e32 v189, v189, v188                             // 00000000FB04: 277B79BD
	v_accvgpr_write_b32 a106, v189                             // 00000000FB08: D3D9406A 180001BD
	v_accvgpr_read_b32 v189, a122                              // 00000000FB10: D3D840BD 1800017A
	v_cndmask_b32_e32 v189, 0, v189, vcc                       // 00000000FB18: 017B7A80
	v_and_b32_e32 v189, v189, v188                             // 00000000FB1C: 277B79BD
	v_accvgpr_write_b32 a122, v189                             // 00000000FB20: D3D9407A 180001BD
	s_mov_b32 s54, 0x8c                                        // 00000000FB28: BEB600FF 0000008C
	v_add_i32 v187, s54, v186                                  // 00000000FB30: D29C00BB 00037436
	v_cmp_lt_i32_e64 vcc, v187, 4                              // 00000000FB38: D0C1006A 000109BB
	v_min_u32_e32 v187, 4, v187                                // 00000000FB40: 1D777684
	v_lshlrev_b32_e32 v187, 3, v187                            // 00000000FB44: 25777683
	v_lshrrev_b32_e64 v188, v187, -1                           // 00000000FB48: D11000BC 000183BB
	v_accvgpr_read_b32 v189, a107                              // 00000000FB50: D3D840BD 1800016B
	v_cndmask_b32_e32 v189, 0, v189, vcc                       // 00000000FB58: 017B7A80
	v_and_b32_e32 v189, v189, v188                             // 00000000FB5C: 277B79BD
	v_accvgpr_write_b32 a107, v189                             // 00000000FB60: D3D9406B 180001BD
	v_accvgpr_read_b32 v189, a123                              // 00000000FB68: D3D840BD 1800017B
	v_cndmask_b32_e32 v189, 0, v189, vcc                       // 00000000FB70: 017B7A80
	v_and_b32_e32 v189, v189, v188                             // 00000000FB74: 277B79BD
	v_accvgpr_write_b32 a123, v189                             // 00000000FB78: D3D9407B 180001BD
	s_mov_b32 s54, 0xc0                                        // 00000000FB80: BEB600FF 000000C0
	v_add_i32 v187, s54, v186                                  // 00000000FB88: D29C00BB 00037436
	v_cmp_lt_i32_e64 vcc, v187, 4                              // 00000000FB90: D0C1006A 000109BB
	v_min_u32_e32 v187, 4, v187                                // 00000000FB98: 1D777684
	v_lshlrev_b32_e32 v187, 3, v187                            // 00000000FB9C: 25777683
	v_lshrrev_b32_e64 v188, v187, -1                           // 00000000FBA0: D11000BC 000183BB
	v_accvgpr_read_b32 v189, a108                              // 00000000FBA8: D3D840BD 1800016C
	v_cndmask_b32_e32 v189, 0, v189, vcc                       // 00000000FBB0: 017B7A80
	v_and_b32_e32 v189, v189, v188                             // 00000000FBB4: 277B79BD
	v_accvgpr_write_b32 a108, v189                             // 00000000FBB8: D3D9406C 180001BD
	v_accvgpr_read_b32 v189, a124                              // 00000000FBC0: D3D840BD 1800017C
	v_cndmask_b32_e32 v189, 0, v189, vcc                       // 00000000FBC8: 017B7A80
	v_and_b32_e32 v189, v189, v188                             // 00000000FBCC: 277B79BD
	v_accvgpr_write_b32 a124, v189                             // 00000000FBD0: D3D9407C 180001BD
	s_mov_b32 s54, 0xc4                                        // 00000000FBD8: BEB600FF 000000C4
	v_add_i32 v187, s54, v186                                  // 00000000FBE0: D29C00BB 00037436
	v_cmp_lt_i32_e64 vcc, v187, 4                              // 00000000FBE8: D0C1006A 000109BB
	v_min_u32_e32 v187, 4, v187                                // 00000000FBF0: 1D777684
	v_lshlrev_b32_e32 v187, 3, v187                            // 00000000FBF4: 25777683
	v_lshrrev_b32_e64 v188, v187, -1                           // 00000000FBF8: D11000BC 000183BB
	v_accvgpr_read_b32 v189, a109                              // 00000000FC00: D3D840BD 1800016D
	v_cndmask_b32_e32 v189, 0, v189, vcc                       // 00000000FC08: 017B7A80
	v_and_b32_e32 v189, v189, v188                             // 00000000FC0C: 277B79BD
	v_accvgpr_write_b32 a109, v189                             // 00000000FC10: D3D9406D 180001BD
	v_accvgpr_read_b32 v189, a125                              // 00000000FC18: D3D840BD 1800017D
	v_cndmask_b32_e32 v189, 0, v189, vcc                       // 00000000FC20: 017B7A80
	v_and_b32_e32 v189, v189, v188                             // 00000000FC24: 277B79BD
	v_accvgpr_write_b32 a125, v189                             // 00000000FC28: D3D9407D 180001BD
	s_mov_b32 s54, 0xc8                                        // 00000000FC30: BEB600FF 000000C8
	v_add_i32 v187, s54, v186                                  // 00000000FC38: D29C00BB 00037436
	v_cmp_lt_i32_e64 vcc, v187, 4                              // 00000000FC40: D0C1006A 000109BB
	v_min_u32_e32 v187, 4, v187                                // 00000000FC48: 1D777684
	v_lshlrev_b32_e32 v187, 3, v187                            // 00000000FC4C: 25777683
	v_lshrrev_b32_e64 v188, v187, -1                           // 00000000FC50: D11000BC 000183BB
	v_accvgpr_read_b32 v189, a110                              // 00000000FC58: D3D840BD 1800016E
	v_cndmask_b32_e32 v189, 0, v189, vcc                       // 00000000FC60: 017B7A80
	v_and_b32_e32 v189, v189, v188                             // 00000000FC64: 277B79BD
	v_accvgpr_write_b32 a110, v189                             // 00000000FC68: D3D9406E 180001BD
	v_accvgpr_read_b32 v189, a126                              // 00000000FC70: D3D840BD 1800017E
	v_cndmask_b32_e32 v189, 0, v189, vcc                       // 00000000FC78: 017B7A80
	v_and_b32_e32 v189, v189, v188                             // 00000000FC7C: 277B79BD
	v_accvgpr_write_b32 a126, v189                             // 00000000FC80: D3D9407E 180001BD
	s_mov_b32 s54, 0xcc                                        // 00000000FC88: BEB600FF 000000CC
	v_add_i32 v187, s54, v186                                  // 00000000FC90: D29C00BB 00037436
	v_cmp_lt_i32_e64 vcc, v187, 4                              // 00000000FC98: D0C1006A 000109BB
	v_min_u32_e32 v187, 4, v187                                // 00000000FCA0: 1D777684
	v_lshlrev_b32_e32 v187, 3, v187                            // 00000000FCA4: 25777683
	v_lshrrev_b32_e64 v188, v187, -1                           // 00000000FCA8: D11000BC 000183BB
	v_accvgpr_read_b32 v189, a111                              // 00000000FCB0: D3D840BD 1800016F
	v_cndmask_b32_e32 v189, 0, v189, vcc                       // 00000000FCB8: 017B7A80
	v_and_b32_e32 v189, v189, v188                             // 00000000FCBC: 277B79BD
	v_accvgpr_write_b32 a111, v189                             // 00000000FCC0: D3D9406F 180001BD
	v_accvgpr_read_b32 v189, a127                              // 00000000FCC8: D3D840BD 1800017F
	v_cndmask_b32_e32 v189, 0, v189, vcc                       // 00000000FCD0: 017B7A80
	v_and_b32_e32 v189, v189, v188                             // 00000000FCD4: 277B79BD
	v_accvgpr_write_b32 a127, v189                             // 00000000FCD8: D3D9407F 180001BD
	s_waitcnt lgkmcnt(7)                                       // 00000000FCE0: BF8CC77F
	v_mfma_f32_16x16x32_fp8_fp8 v[92:95], a[96:97], v[28:29], 0// 00000000FCE4: D3F3005C 0A023960
	v_mfma_f32_16x16x32_fp8_fp8 v[96:99], a[112:113], v[28:29], 0// 00000000FCEC: D3F30060 0A023970
	v_mfma_f32_16x16x32_fp8_fp8 v[92:95], a[98:99], v[30:31], v[92:95]// 00000000FCF4: D3F3005C 0D723D62
	buffer_load_dwordx4 a[64:67], v204, s[16:19], 0 offen      // 00000000FCFC: E05C1000 808440CC
	v_mfma_f32_16x16x32_fp8_fp8 v[96:99], a[114:115], v[30:31], v[96:99]// 00000000FD04: D3F30060 0D823D72
	s_waitcnt lgkmcnt(6)                                       // 00000000FD0C: BF8CC67F
	v_mfma_f32_16x16x32_fp8_fp8 v[92:95], a[100:101], v[32:33], v[92:95]// 00000000FD10: D3F3005C 0D724164
	v_mfma_f32_16x16x32_fp8_fp8 v[96:99], a[116:117], v[32:33], v[96:99]// 00000000FD18: D3F30060 0D824174
	v_mfma_f32_16x16x32_fp8_fp8 v[92:95], a[102:103], v[34:35], v[92:95]// 00000000FD20: D3F3005C 0D724566
	buffer_load_dwordx4 a[68:71], v205, s[16:19], 0 offen      // 00000000FD28: E05C1000 808444CD
	v_mfma_f32_16x16x32_fp8_fp8 v[96:99], a[118:119], v[34:35], v[96:99]// 00000000FD30: D3F30060 0D824576
	s_waitcnt lgkmcnt(5)                                       // 00000000FD38: BF8CC57F
	v_mfma_f32_16x16x32_fp8_fp8 v[92:95], a[104:105], v[36:37], v[92:95]// 00000000FD3C: D3F3005C 0D724968
	v_mfma_f32_16x16x32_fp8_fp8 v[96:99], a[120:121], v[36:37], v[96:99]// 00000000FD44: D3F30060 0D824978
	v_mfma_f32_16x16x32_fp8_fp8 v[92:95], a[106:107], v[38:39], v[92:95]// 00000000FD4C: D3F3005C 0D724D6A
	buffer_load_dwordx4 a[72:75], v206, s[16:19], 0 offen      // 00000000FD54: E05C1000 808448CE
	v_mfma_f32_16x16x32_fp8_fp8 v[96:99], a[122:123], v[38:39], v[96:99]// 00000000FD5C: D3F30060 0D824D7A
	s_waitcnt lgkmcnt(4)                                       // 00000000FD64: BF8CC47F
	v_mfma_f32_16x16x32_fp8_fp8 v[92:95], a[108:109], v[40:41], v[92:95]// 00000000FD68: D3F3005C 0D72516C
	v_mfma_f32_16x16x32_fp8_fp8 v[96:99], a[124:125], v[40:41], v[96:99]// 00000000FD70: D3F30060 0D82517C
	v_mfma_f32_16x16x32_fp8_fp8 v[92:95], a[110:111], v[42:43], v[92:95]// 00000000FD78: D3F3005C 0D72556E
	buffer_load_dwordx4 a[76:79], v207, s[16:19], 0 offen      // 00000000FD80: E05C1000 80844CCF
	v_mfma_f32_16x16x32_fp8_fp8 v[96:99], a[126:127], v[42:43], v[96:99]// 00000000FD88: D3F30060 0D82557E
	s_waitcnt lgkmcnt(3)                                       // 00000000FD90: BF8CC37F
	v_mfma_f32_16x16x32_fp8_fp8 v[100:103], a[96:97], v[44:45], 0// 00000000FD94: D3F30064 0A025960
	v_mfma_f32_16x16x32_fp8_fp8 v[104:107], a[112:113], v[44:45], 0// 00000000FD9C: D3F30068 0A025970
	v_mfma_f32_16x16x32_fp8_fp8 v[100:103], a[98:99], v[46:47], v[100:103]// 00000000FDA4: D3F30064 0D925D62
	buffer_load_dwordx4 a[80:83], v204, s[16:19], 0 offen offset:1024// 00000000FDAC: E05C1400 808450CC
	v_mfma_f32_16x16x32_fp8_fp8 v[104:107], a[114:115], v[46:47], v[104:107]// 00000000FDB4: D3F30068 0DA25D72
	s_waitcnt lgkmcnt(2)                                       // 00000000FDBC: BF8CC27F
	v_mfma_f32_16x16x32_fp8_fp8 v[100:103], a[100:101], v[48:49], v[100:103]// 00000000FDC0: D3F30064 0D926164
	v_mfma_f32_16x16x32_fp8_fp8 v[104:107], a[116:117], v[48:49], v[104:107]// 00000000FDC8: D3F30068 0DA26174
	v_mfma_f32_16x16x32_fp8_fp8 v[100:103], a[102:103], v[50:51], v[100:103]// 00000000FDD0: D3F30064 0D926566
	buffer_load_dwordx4 a[84:87], v205, s[16:19], 0 offen offset:1024// 00000000FDD8: E05C1400 808454CD
	v_mfma_f32_16x16x32_fp8_fp8 v[104:107], a[118:119], v[50:51], v[104:107]// 00000000FDE0: D3F30068 0DA26576
	s_waitcnt lgkmcnt(1)                                       // 00000000FDE8: BF8CC17F
	v_mfma_f32_16x16x32_fp8_fp8 v[100:103], a[104:105], v[52:53], v[100:103]// 00000000FDEC: D3F30064 0D926968
	v_mfma_f32_16x16x32_fp8_fp8 v[104:107], a[120:121], v[52:53], v[104:107]// 00000000FDF4: D3F30068 0DA26978
	v_mfma_f32_16x16x32_fp8_fp8 v[100:103], a[106:107], v[54:55], v[100:103]// 00000000FDFC: D3F30064 0D926D6A
	buffer_load_dwordx4 a[88:91], v206, s[16:19], 0 offen offset:1024// 00000000FE04: E05C1400 808458CE
	v_mfma_f32_16x16x32_fp8_fp8 v[104:107], a[122:123], v[54:55], v[104:107]// 00000000FE0C: D3F30068 0DA26D7A
	s_waitcnt lgkmcnt(0)                                       // 00000000FE14: BF8CC07F
	v_mfma_f32_16x16x32_fp8_fp8 v[100:103], a[108:109], v[56:57], v[100:103]// 00000000FE18: D3F30064 0D92716C
	v_mfma_f32_16x16x32_fp8_fp8 v[104:107], a[124:125], v[56:57], v[104:107]// 00000000FE20: D3F30068 0DA2717C
	v_mfma_f32_16x16x32_fp8_fp8 v[100:103], a[110:111], v[58:59], v[100:103]// 00000000FE28: D3F30064 0D92756E
	buffer_load_dwordx4 a[92:95], v207, s[16:19], 0 offen offset:1024// 00000000FE30: E05C1400 80845CCF
	v_mfma_f32_16x16x32_fp8_fp8 v[104:107], a[126:127], v[58:59], v[104:107]// 00000000FE38: D3F30068 0DA2757E
	s_addk_i32 s64, 0x100                                      // 00000000FE40: B7400100
	s_branch label_1DFE                                        // 00000000FE44: BF82E86C

000000000000fe48 <label_3592>:
	v_mov_b32_e32 v147, v148                                   // 00000000FE48: 7F260394
	ds_write_b64 v220, v[146:147]                              // 00000000FE4C: D89A0000 000092DC
	v_pk_mul_f32 v[108:109], v[142:143], v[108:109]            // 00000000FE54: D3B1406C 1802D98E
	v_pk_mul_f32 v[110:111], v[142:143], v[110:111]            // 00000000FE5C: D3B1406E 1802DD8E
	v_pk_mul_f32 v[112:113], v[142:143], v[112:113]            // 00000000FE64: D3B14070 1802E18E
	v_pk_mul_f32 v[114:115], v[142:143], v[114:115]            // 00000000FE6C: D3B14072 1802E58E
	v_pk_mul_f32 v[116:117], v[144:145], v[116:117]            // 00000000FE74: D3B14074 1802E990
	v_pk_mul_f32 v[118:119], v[144:145], v[118:119]            // 00000000FE7C: D3B14076 1802ED90
	v_pk_mul_f32 v[120:121], v[144:145], v[120:121]            // 00000000FE84: D3B14078 1802F190
	v_pk_mul_f32 v[122:123], v[144:145], v[122:123]            // 00000000FE8C: D3B1407A 1802F590
	s_waitcnt lgkmcnt(0)                                       // 00000000FE94: BF8CC07F
	s_barrier                                                  // 00000000FE98: BF8A0000
	ds_read_b64 v[154:155], v221                               // 00000000FE9C: D8EC0000 9A0000DD
	ds_read_b64 v[156:157], v221 offset:128                    // 00000000FEA4: D8EC0080 9C0000DD
	ds_read_b64 v[158:159], v221 offset:256                    // 00000000FEAC: D8EC0100 9E0000DD
	ds_read_b64 v[160:161], v221 offset:384                    // 00000000FEB4: D8EC0180 A00000DD
	ds_read_b64 v[162:163], v221 offset:512                    // 00000000FEBC: D8EC0200 A20000DD
	ds_read_b64 v[164:165], v221 offset:640                    // 00000000FEC4: D8EC0280 A40000DD
	ds_read_b64 v[166:167], v221 offset:768                    // 00000000FECC: D8EC0300 A60000DD
	ds_read_b64 v[168:169], v221 offset:896                    // 00000000FED4: D8EC0380 A80000DD
	ds_read_b64 v[170:171], v221 offset:1024                   // 00000000FEDC: D8EC0400 AA0000DD
	ds_read_b64 v[172:173], v221 offset:1152                   // 00000000FEE4: D8EC0480 AC0000DD
	ds_read_b64 v[174:175], v221 offset:1280                   // 00000000FEEC: D8EC0500 AE0000DD
	ds_read_b64 v[176:177], v221 offset:1408                   // 00000000FEF4: D8EC0580 B00000DD
	ds_read_b64 v[178:179], v221 offset:1536                   // 00000000FEFC: D8EC0600 B20000DD
	ds_read_b64 v[180:181], v221 offset:1664                   // 00000000FF04: D8EC0680 B40000DD
	ds_read_b64 v[182:183], v221 offset:1792                   // 00000000FF0C: D8EC0700 B60000DD
	ds_read_b64 v[184:185], v221 offset:1920                   // 00000000FF14: D8EC0780 B80000DD
	v_pk_mul_f32 v[92:93], v[132:133], v[92:93]                // 00000000FF1C: D3B1405C 1802B984
	v_pk_mul_f32 v[94:95], v[132:133], v[94:95]                // 00000000FF24: D3B1405E 1802BD84
	v_pk_mul_f32 v[96:97], v[132:133], v[96:97]                // 00000000FF2C: D3B14060 1802C184
	v_pk_mul_f32 v[98:99], v[132:133], v[98:99]                // 00000000FF34: D3B14062 1802C584
	v_pk_mul_f32 v[100:101], v[134:135], v[100:101]            // 00000000FF3C: D3B14064 1802C986
	v_pk_mul_f32 v[102:103], v[134:135], v[102:103]            // 00000000FF44: D3B14066 1802CD86
	v_pk_mul_f32 v[104:105], v[134:135], v[104:105]            // 00000000FF4C: D3B14068 1802D186
	v_pk_mul_f32 v[106:107], v[134:135], v[106:107]            // 00000000FF54: D3B1406A 1802D586
	v_pk_add_f32 v[108:109], v[108:109], v[92:93]              // 00000000FF5C: D3B2406C 1802B96C
	v_pk_add_f32 v[110:111], v[110:111], v[94:95]              // 00000000FF64: D3B2406E 1802BD6E
	v_pk_add_f32 v[112:113], v[112:113], v[96:97]              // 00000000FF6C: D3B24070 1802C170
	v_pk_add_f32 v[114:115], v[114:115], v[98:99]              // 00000000FF74: D3B24072 1802C572
	v_pk_add_f32 v[116:117], v[116:117], v[100:101]            // 00000000FF7C: D3B24074 1802C974
	v_pk_add_f32 v[118:119], v[118:119], v[102:103]            // 00000000FF84: D3B24076 1802CD76
	v_pk_add_f32 v[120:121], v[120:121], v[104:105]            // 00000000FF8C: D3B24078 1802D178
	v_pk_add_f32 v[122:123], v[122:123], v[106:107]            // 00000000FF94: D3B2407A 1802D57A
	s_waitcnt lgkmcnt(0)                                       // 00000000FF9C: BF8CC07F
	v_mov_b64_e32 v[146:147], 0                                // 00000000FFA0: 7F247080
	v_pk_add_f32 v[146:147], v[154:155], v[146:147]            // 00000000FFA4: D3B24092 1803259A
	v_pk_add_f32 v[146:147], v[156:157], v[146:147]            // 00000000FFAC: D3B24092 1803259C
	v_pk_add_f32 v[146:147], v[158:159], v[146:147]            // 00000000FFB4: D3B24092 1803259E
	v_pk_add_f32 v[146:147], v[160:161], v[146:147]            // 00000000FFBC: D3B24092 180325A0
	v_pk_add_f32 v[146:147], v[162:163], v[146:147]            // 00000000FFC4: D3B24092 180325A2
	v_pk_add_f32 v[146:147], v[164:165], v[146:147]            // 00000000FFCC: D3B24092 180325A4
	v_pk_add_f32 v[146:147], v[166:167], v[146:147]            // 00000000FFD4: D3B24092 180325A6
	v_pk_add_f32 v[146:147], v[168:169], v[146:147]            // 00000000FFDC: D3B24092 180325A8
	v_pk_add_f32 v[146:147], v[170:171], v[146:147]            // 00000000FFE4: D3B24092 180325AA
	v_pk_add_f32 v[146:147], v[172:173], v[146:147]            // 00000000FFEC: D3B24092 180325AC
	v_pk_add_f32 v[146:147], v[174:175], v[146:147]            // 00000000FFF4: D3B24092 180325AE
	v_pk_add_f32 v[146:147], v[176:177], v[146:147]            // 00000000FFFC: D3B24092 180325B0
	v_pk_add_f32 v[146:147], v[178:179], v[146:147]            // 000000010004: D3B24092 180325B2
	v_pk_add_f32 v[146:147], v[180:181], v[146:147]            // 00000001000C: D3B24092 180325B4
	v_pk_add_f32 v[146:147], v[182:183], v[146:147]            // 000000010014: D3B24092 180325B6
	v_pk_add_f32 v[146:147], v[184:185], v[146:147]            // 00000001001C: D3B24092 180325B8
	v_rcp_f32_e32 v154, v146                                   // 000000010024: 7F344592
	v_cmp_eq_u32_e64 s[54:55], 0, v146                         // 000000010028: D0CA0036 00032480
	s_nop 0                                                    // 000000010030: BF800000
	v_cndmask_b32_e64 v154, v154, 0, s[54:55]                  // 000000010034: D100009A 00D9019A
	v_rcp_f32_e32 v155, v147                                   // 00000001003C: 7F364593
	v_cmp_eq_u32_e64 s[54:55], 0, v147                         // 000000010040: D0CA0036 00032680
	s_nop 0                                                    // 000000010048: BF800000
	v_cndmask_b32_e64 v155, v155, 0, s[54:55]                  // 00000001004C: D100009B 00D9019B
	v_mov_b32_e32 v156, v155                                   // 000000010054: 7F38039B
	v_mov_b32_e32 v157, v155                                   // 000000010058: 7F3A039B
	v_mov_b32_e32 v155, v154                                   // 00000001005C: 7F36039A
	v_pk_mul_f32 v[108:109], v[154:155], v[108:109]            // 000000010060: D3B1406C 1802D99A
	v_pk_mul_f32 v[110:111], v[154:155], v[110:111]            // 000000010068: D3B1406E 1802DD9A
	v_pk_mul_f32 v[112:113], v[154:155], v[112:113]            // 000000010070: D3B14070 1802E19A
	v_pk_mul_f32 v[114:115], v[154:155], v[114:115]            // 000000010078: D3B14072 1802E59A
	v_pk_mul_f32 v[116:117], v[156:157], v[116:117]            // 000000010080: D3B14074 1802E99C
	v_pk_mul_f32 v[118:119], v[156:157], v[118:119]            // 000000010088: D3B14076 1802ED9C
	v_pk_mul_f32 v[120:121], v[156:157], v[120:121]            // 000000010090: D3B14078 1802F19C
	v_pk_mul_f32 v[122:123], v[156:157], v[122:123]            // 000000010098: D3B1407A 1802F59C
	s_cmp_eq_i32 s73, -1                                       // 0000000100A0: BF00C149
	s_cbranch_scc0 label_36AF                                  // 0000000100A4: BF840085
	v_cmp_u_f32_e64 s[98:99], v108, v108                       // 0000000100A8: D0480062 0002D96C
	v_add3_u32 v190, v108, v193, 1                             // 0000000100B0: D1FF00BE 0207836C
	v_cndmask_b32_e64 v186, v190, v192, s[98:99]               // 0000000100B8: D10000BA 018B81BE
	v_cmp_u_f32_e64 s[98:99], v109, v109                       // 0000000100C0: D0480062 0002DB6D
	v_add3_u32 v190, v109, v193, 1                             // 0000000100C8: D1FF00BE 0207836D
	v_cndmask_b32_e64 v187, v190, v192, s[98:99]               // 0000000100D0: D10000BB 018B81BE
	v_perm_b32 v108, v187, v186, s56                           // 0000000100D8: D1ED006C 00E375BB
	v_cmp_u_f32_e64 s[98:99], v110, v110                       // 0000000100E0: D0480062 0002DD6E
	v_add3_u32 v190, v110, v193, 1                             // 0000000100E8: D1FF00BE 0207836E
	v_cndmask_b32_e64 v186, v190, v192, s[98:99]               // 0000000100F0: D10000BA 018B81BE
	v_cmp_u_f32_e64 s[98:99], v111, v111                       // 0000000100F8: D0480062 0002DF6F
	v_add3_u32 v190, v111, v193, 1                             // 000000010100: D1FF00BE 0207836F
	v_cndmask_b32_e64 v187, v190, v192, s[98:99]               // 000000010108: D10000BB 018B81BE
	v_perm_b32 v109, v187, v186, s56                           // 000000010110: D1ED006D 00E375BB
	v_cmp_u_f32_e64 s[98:99], v112, v112                       // 000000010118: D0480062 0002E170
	v_add3_u32 v190, v112, v193, 1                             // 000000010120: D1FF00BE 02078370
	v_cndmask_b32_e64 v186, v190, v192, s[98:99]               // 000000010128: D10000BA 018B81BE
	v_cmp_u_f32_e64 s[98:99], v113, v113                       // 000000010130: D0480062 0002E371
	v_add3_u32 v190, v113, v193, 1                             // 000000010138: D1FF00BE 02078371
	v_cndmask_b32_e64 v187, v190, v192, s[98:99]               // 000000010140: D10000BB 018B81BE
	v_perm_b32 v110, v187, v186, s56                           // 000000010148: D1ED006E 00E375BB
	v_cmp_u_f32_e64 s[98:99], v114, v114                       // 000000010150: D0480062 0002E572
	v_add3_u32 v190, v114, v193, 1                             // 000000010158: D1FF00BE 02078372
	v_cndmask_b32_e64 v186, v190, v192, s[98:99]               // 000000010160: D10000BA 018B81BE
	v_cmp_u_f32_e64 s[98:99], v115, v115                       // 000000010168: D0480062 0002E773
	v_add3_u32 v190, v115, v193, 1                             // 000000010170: D1FF00BE 02078373
	v_cndmask_b32_e64 v187, v190, v192, s[98:99]               // 000000010178: D10000BB 018B81BE
	v_perm_b32 v111, v187, v186, s56                           // 000000010180: D1ED006F 00E375BB
	v_cmp_u_f32_e64 s[98:99], v116, v116                       // 000000010188: D0480062 0002E974
	v_add3_u32 v190, v116, v193, 1                             // 000000010190: D1FF00BE 02078374
	v_cndmask_b32_e64 v186, v190, v192, s[98:99]               // 000000010198: D10000BA 018B81BE
	v_cmp_u_f32_e64 s[98:99], v117, v117                       // 0000000101A0: D0480062 0002EB75
	v_add3_u32 v190, v117, v193, 1                             // 0000000101A8: D1FF00BE 02078375
	v_cndmask_b32_e64 v187, v190, v192, s[98:99]               // 0000000101B0: D10000BB 018B81BE
	v_perm_b32 v112, v187, v186, s56                           // 0000000101B8: D1ED0070 00E375BB
	v_cmp_u_f32_e64 s[98:99], v118, v118                       // 0000000101C0: D0480062 0002ED76
	v_add3_u32 v190, v118, v193, 1                             // 0000000101C8: D1FF00BE 02078376
	v_cndmask_b32_e64 v186, v190, v192, s[98:99]               // 0000000101D0: D10000BA 018B81BE
	v_cmp_u_f32_e64 s[98:99], v119, v119                       // 0000000101D8: D0480062 0002EF77
	v_add3_u32 v190, v119, v193, 1                             // 0000000101E0: D1FF00BE 02078377
	v_cndmask_b32_e64 v187, v190, v192, s[98:99]               // 0000000101E8: D10000BB 018B81BE
	v_perm_b32 v113, v187, v186, s56                           // 0000000101F0: D1ED0071 00E375BB
	v_cmp_u_f32_e64 s[98:99], v120, v120                       // 0000000101F8: D0480062 0002F178
	v_add3_u32 v190, v120, v193, 1                             // 000000010200: D1FF00BE 02078378
	v_cndmask_b32_e64 v186, v190, v192, s[98:99]               // 000000010208: D10000BA 018B81BE
	v_cmp_u_f32_e64 s[98:99], v121, v121                       // 000000010210: D0480062 0002F379
	v_add3_u32 v190, v121, v193, 1                             // 000000010218: D1FF00BE 02078379
	v_cndmask_b32_e64 v187, v190, v192, s[98:99]               // 000000010220: D10000BB 018B81BE
	v_perm_b32 v114, v187, v186, s56                           // 000000010228: D1ED0072 00E375BB
	v_cmp_u_f32_e64 s[98:99], v122, v122                       // 000000010230: D0480062 0002F57A
	v_add3_u32 v190, v122, v193, 1                             // 000000010238: D1FF00BE 0207837A
	v_cndmask_b32_e64 v186, v190, v192, s[98:99]               // 000000010240: D10000BA 018B81BE
	v_cmp_u_f32_e64 s[98:99], v123, v123                       // 000000010248: D0480062 0002F77B
	v_add3_u32 v190, v123, v193, 1                             // 000000010250: D1FF00BE 0207837B
	v_cndmask_b32_e64 v187, v190, v192, s[98:99]               // 000000010258: D10000BB 018B81BE
	v_perm_b32 v115, v187, v186, s56                           // 000000010260: D1ED0073 00E375BB
	ds_write_b64 v218, v[108:109] offset:4608                  // 000000010268: D89A1200 00006CDA
	ds_write_b64 v218, v[110:111] offset:6912                  // 000000010270: D89A1B00 00006EDA
	ds_write_b64 v218, v[112:113] offset:9216                  // 000000010278: D89A2400 000070DA
	ds_write_b64 v218, v[114:115] offset:11520                 // 000000010280: D89A2D00 000072DA
	s_waitcnt lgkmcnt(0)                                       // 000000010288: BF8CC07F
	s_barrier                                                  // 00000001028C: BF8A0000
	ds_read_b128 v[108:111], v219 offset:4608                  // 000000010290: D9FE1200 6C0000DB
	ds_read_b128 v[112:115], v219 offset:9216                  // 000000010298: D9FE2400 700000DB
	s_waitcnt lgkmcnt(1)                                       // 0000000102A0: BF8CC17F
	buffer_store_dwordx4 v[108:111], v200, s[4:7], 0 offen     // 0000000102A4: E07C1000 80016CC8
	s_waitcnt lgkmcnt(0)                                       // 0000000102AC: BF8CC07F
	buffer_store_dwordx4 v[112:115], v201, s[4:7], 0 offen     // 0000000102B0: E07C1000 800170C9
	s_branch label_36CD                                        // 0000000102B8: BF82001E

00000000000102bc <label_36AF>:
	v_rcp_f32_e32 v189, 0x3fb8aa3b                             // 0000000102BC: 7F7A44FF 3FB8AA3B
	v_log_f32_e32 v186, v146                                   // 0000000102C4: 7F744392
	v_mul_f32_e64 v187, v138, s46                              // 0000000102C8: D10500BB 00005D8A
	v_add_f32_e32 v136, v186, v187                             // 0000000102D0: 031177BA
	v_mul_f32_e32 v136, v136, v189                             // 0000000102D4: 0B117B88
	buffer_store_dword v136, v210, s[32:35], 0 offen           // 0000000102D8: E0701000 800888D2
	v_log_f32_e32 v186, v147                                   // 0000000102E0: 7F744393
	v_mul_f32_e64 v187, v139, s46                              // 0000000102E4: D10500BB 00005D8B
	v_add_f32_e32 v137, v186, v187                             // 0000000102EC: 031377BA
	v_mul_f32_e32 v137, v137, v189                             // 0000000102F0: 0B137B89
	buffer_store_dword v137, v211, s[32:35], 0 offen           // 0000000102F4: E0701000 800889D3
	v_add_u32_e32 v186, 0, v212                                // 0000000102FC: 6975A880
	buffer_store_dwordx4 v[108:111], v186, s[28:31], 0 offen   // 000000010300: E07C1000 80076CBA
	v_add_u32_e32 v186, 0x100, v212                            // 000000010308: 6975A8FF 00000100
	buffer_store_dwordx4 v[112:115], v186, s[28:31], 0 offen   // 000000010310: E07C1000 800770BA
	v_add_u32_e32 v186, 0, v213                                // 000000010318: 6975AA80
	buffer_store_dwordx4 v[116:119], v186, s[28:31], 0 offen   // 00000001031C: E07C1000 800774BA
	v_add_u32_e32 v186, 0x100, v213                            // 000000010324: 6975AAFF 00000100
	buffer_store_dwordx4 v[120:123], v186, s[28:31], 0 offen   // 00000001032C: E07C1000 800778BA

0000000000010334 <label_36CD>:
	s_addk_i32 s80, 0x1                                        // 000000010334: B7500001
	s_branch label_01AB                                        // 000000010338: BF82CADC

000000000001033c <label_36CF>:
	s_waitcnt vmcnt(0) expcnt(0) lgkmcnt(0)                    // 00000001033C: BF8C0000
	s_endpgm                                                   // 000000010340: BF810000
